;; amdgpu-corpus repo=ROCm/rocFFT kind=compiled arch=gfx950 opt=O3
	.text
	.amdgcn_target "amdgcn-amd-amdhsa--gfx950"
	.amdhsa_code_object_version 6
	.protected	fft_rtc_back_len1375_factors_11_5_5_5_wgs_55_tpt_55_halfLds_sp_op_CI_CI_sbrr_dirReg ; -- Begin function fft_rtc_back_len1375_factors_11_5_5_5_wgs_55_tpt_55_halfLds_sp_op_CI_CI_sbrr_dirReg
	.globl	fft_rtc_back_len1375_factors_11_5_5_5_wgs_55_tpt_55_halfLds_sp_op_CI_CI_sbrr_dirReg
	.p2align	8
	.type	fft_rtc_back_len1375_factors_11_5_5_5_wgs_55_tpt_55_halfLds_sp_op_CI_CI_sbrr_dirReg,@function
fft_rtc_back_len1375_factors_11_5_5_5_wgs_55_tpt_55_halfLds_sp_op_CI_CI_sbrr_dirReg: ; @fft_rtc_back_len1375_factors_11_5_5_5_wgs_55_tpt_55_halfLds_sp_op_CI_CI_sbrr_dirReg
; %bb.0:
	s_load_dwordx4 s[12:15], s[0:1], 0x18
	s_load_dwordx4 s[8:11], s[0:1], 0x0
	;; [unrolled: 1-line block ×3, first 2 shown]
	v_mul_u32_u24_e32 v1, 0x4a8, v0
	v_add_u32_sdwa v8, s2, v1 dst_sel:DWORD dst_unused:UNUSED_PAD src0_sel:DWORD src1_sel:WORD_1
	s_waitcnt lgkmcnt(0)
	s_load_dwordx2 s[18:19], s[12:13], 0x0
	s_load_dwordx2 s[16:17], s[14:15], 0x0
	v_mov_b32_e32 v6, 0
	v_cmp_lt_u64_e64 s[2:3], s[10:11], 2
	v_mov_b32_e32 v9, v6
	s_and_b64 vcc, exec, s[2:3]
	v_mov_b64_e32 v[76:77], 0
	s_cbranch_vccnz .LBB0_8
; %bb.1:
	s_load_dwordx2 s[2:3], s[0:1], 0x10
	s_add_u32 s20, s14, 8
	s_addc_u32 s21, s15, 0
	s_add_u32 s22, s12, 8
	s_addc_u32 s23, s13, 0
	s_waitcnt lgkmcnt(0)
	s_add_u32 s24, s2, 8
	v_mov_b64_e32 v[76:77], 0
	s_addc_u32 s25, s3, 0
	s_mov_b64 s[26:27], 1
	v_mov_b64_e32 v[2:3], v[76:77]
.LBB0_2:                                ; =>This Inner Loop Header: Depth=1
	s_load_dwordx2 s[28:29], s[24:25], 0x0
                                        ; implicit-def: $vgpr4_vgpr5
	s_waitcnt lgkmcnt(0)
	v_or_b32_e32 v7, s29, v9
	v_cmp_ne_u64_e32 vcc, 0, v[6:7]
	s_and_saveexec_b64 s[2:3], vcc
	s_xor_b64 s[30:31], exec, s[2:3]
	s_cbranch_execz .LBB0_4
; %bb.3:                                ;   in Loop: Header=BB0_2 Depth=1
	v_cvt_f32_u32_e32 v1, s28
	v_cvt_f32_u32_e32 v4, s29
	s_sub_u32 s2, 0, s28
	s_subb_u32 s3, 0, s29
	v_fmac_f32_e32 v1, 0x4f800000, v4
	v_rcp_f32_e32 v1, v1
	s_nop 0
	v_mul_f32_e32 v1, 0x5f7ffffc, v1
	v_mul_f32_e32 v4, 0x2f800000, v1
	v_trunc_f32_e32 v4, v4
	v_fmac_f32_e32 v1, 0xcf800000, v4
	v_cvt_u32_f32_e32 v7, v4
	v_cvt_u32_f32_e32 v1, v1
	v_mul_lo_u32 v4, s2, v7
	v_mul_hi_u32 v10, s2, v1
	v_mul_lo_u32 v5, s3, v1
	v_add_u32_e32 v10, v10, v4
	v_mul_lo_u32 v12, s2, v1
	v_add_u32_e32 v13, v10, v5
	v_mul_hi_u32 v4, v1, v12
	v_mul_hi_u32 v11, v1, v13
	v_mul_lo_u32 v10, v1, v13
	v_mov_b32_e32 v5, v6
	v_lshl_add_u64 v[4:5], v[4:5], 0, v[10:11]
	v_mul_hi_u32 v11, v7, v12
	v_mul_lo_u32 v12, v7, v12
	v_add_co_u32_e32 v4, vcc, v4, v12
	v_mul_hi_u32 v10, v7, v13
	s_nop 0
	v_addc_co_u32_e32 v4, vcc, v5, v11, vcc
	v_mov_b32_e32 v5, v6
	s_nop 0
	v_addc_co_u32_e32 v11, vcc, 0, v10, vcc
	v_mul_lo_u32 v10, v7, v13
	v_lshl_add_u64 v[4:5], v[4:5], 0, v[10:11]
	v_add_co_u32_e32 v1, vcc, v1, v4
	v_mul_lo_u32 v10, s2, v1
	s_nop 0
	v_addc_co_u32_e32 v7, vcc, v7, v5, vcc
	v_mul_lo_u32 v4, s2, v7
	v_mul_hi_u32 v5, s2, v1
	v_add_u32_e32 v4, v5, v4
	v_mul_lo_u32 v5, s3, v1
	v_add_u32_e32 v12, v4, v5
	v_mul_hi_u32 v14, v7, v10
	v_mul_lo_u32 v15, v7, v10
	v_mul_hi_u32 v5, v1, v12
	v_mul_lo_u32 v4, v1, v12
	v_mul_hi_u32 v10, v1, v10
	v_mov_b32_e32 v11, v6
	v_lshl_add_u64 v[4:5], v[10:11], 0, v[4:5]
	v_add_co_u32_e32 v4, vcc, v4, v15
	v_mul_hi_u32 v13, v7, v12
	s_nop 0
	v_addc_co_u32_e32 v4, vcc, v5, v14, vcc
	v_mul_lo_u32 v10, v7, v12
	s_nop 0
	v_addc_co_u32_e32 v11, vcc, 0, v13, vcc
	v_mov_b32_e32 v5, v6
	v_lshl_add_u64 v[4:5], v[4:5], 0, v[10:11]
	v_add_co_u32_e32 v1, vcc, v1, v4
	v_mul_hi_u32 v10, v8, v1
	s_nop 0
	v_addc_co_u32_e32 v7, vcc, v7, v5, vcc
	v_mad_u64_u32 v[4:5], s[2:3], v8, v7, 0
	v_mov_b32_e32 v11, v6
	v_lshl_add_u64 v[4:5], v[10:11], 0, v[4:5]
	v_mad_u64_u32 v[12:13], s[2:3], v9, v1, 0
	v_add_co_u32_e32 v1, vcc, v4, v12
	v_mad_u64_u32 v[10:11], s[2:3], v9, v7, 0
	s_nop 0
	v_addc_co_u32_e32 v4, vcc, v5, v13, vcc
	v_mov_b32_e32 v5, v6
	s_nop 0
	v_addc_co_u32_e32 v11, vcc, 0, v11, vcc
	v_lshl_add_u64 v[4:5], v[4:5], 0, v[10:11]
	v_mul_lo_u32 v1, s29, v4
	v_mul_lo_u32 v7, s28, v5
	v_mad_u64_u32 v[10:11], s[2:3], s28, v4, 0
	v_add3_u32 v1, v11, v7, v1
	v_sub_u32_e32 v7, v9, v1
	v_mov_b32_e32 v11, s29
	v_sub_co_u32_e32 v14, vcc, v8, v10
	v_lshl_add_u64 v[12:13], v[4:5], 0, 1
	s_nop 0
	v_subb_co_u32_e64 v7, s[2:3], v7, v11, vcc
	v_subrev_co_u32_e64 v10, s[2:3], s28, v14
	v_subb_co_u32_e32 v1, vcc, v9, v1, vcc
	s_nop 0
	v_subbrev_co_u32_e64 v7, s[2:3], 0, v7, s[2:3]
	v_cmp_le_u32_e64 s[2:3], s29, v7
	v_cmp_le_u32_e32 vcc, s29, v1
	s_nop 0
	v_cndmask_b32_e64 v11, 0, -1, s[2:3]
	v_cmp_le_u32_e64 s[2:3], s28, v10
	s_nop 1
	v_cndmask_b32_e64 v10, 0, -1, s[2:3]
	v_cmp_eq_u32_e64 s[2:3], s29, v7
	s_nop 1
	v_cndmask_b32_e64 v7, v11, v10, s[2:3]
	v_lshl_add_u64 v[10:11], v[4:5], 0, 2
	v_cmp_ne_u32_e64 s[2:3], 0, v7
	s_nop 1
	v_cndmask_b32_e64 v7, v13, v11, s[2:3]
	v_cndmask_b32_e64 v11, 0, -1, vcc
	v_cmp_le_u32_e32 vcc, s28, v14
	s_nop 1
	v_cndmask_b32_e64 v13, 0, -1, vcc
	v_cmp_eq_u32_e32 vcc, s29, v1
	s_nop 1
	v_cndmask_b32_e32 v1, v11, v13, vcc
	v_cmp_ne_u32_e32 vcc, 0, v1
	v_cndmask_b32_e64 v1, v12, v10, s[2:3]
	s_nop 0
	v_cndmask_b32_e32 v5, v5, v7, vcc
	v_cndmask_b32_e32 v4, v4, v1, vcc
.LBB0_4:                                ;   in Loop: Header=BB0_2 Depth=1
	s_andn2_saveexec_b64 s[2:3], s[30:31]
	s_cbranch_execz .LBB0_6
; %bb.5:                                ;   in Loop: Header=BB0_2 Depth=1
	v_cvt_f32_u32_e32 v1, s28
	s_sub_i32 s30, 0, s28
	v_rcp_iflag_f32_e32 v1, v1
	s_nop 0
	v_mul_f32_e32 v1, 0x4f7ffffe, v1
	v_cvt_u32_f32_e32 v1, v1
	v_mul_lo_u32 v4, s30, v1
	v_mul_hi_u32 v4, v1, v4
	v_add_u32_e32 v1, v1, v4
	v_mul_hi_u32 v1, v8, v1
	v_mul_lo_u32 v4, v1, s28
	v_sub_u32_e32 v4, v8, v4
	v_add_u32_e32 v5, 1, v1
	v_subrev_u32_e32 v7, s28, v4
	v_cmp_le_u32_e32 vcc, s28, v4
	s_nop 1
	v_cndmask_b32_e32 v4, v4, v7, vcc
	v_cndmask_b32_e32 v1, v1, v5, vcc
	v_add_u32_e32 v5, 1, v1
	v_cmp_le_u32_e32 vcc, s28, v4
	s_nop 1
	v_cndmask_b32_e32 v4, v1, v5, vcc
	v_mov_b32_e32 v5, v6
.LBB0_6:                                ;   in Loop: Header=BB0_2 Depth=1
	s_or_b64 exec, exec, s[2:3]
	v_mad_u64_u32 v[10:11], s[2:3], v4, s28, 0
	s_load_dwordx2 s[2:3], s[22:23], 0x0
	v_mul_lo_u32 v1, v5, s28
	v_mul_lo_u32 v7, v4, s29
	s_load_dwordx2 s[28:29], s[20:21], 0x0
	s_add_u32 s26, s26, 1
	v_add3_u32 v1, v11, v7, v1
	v_sub_co_u32_e32 v7, vcc, v8, v10
	s_addc_u32 s27, s27, 0
	s_nop 0
	v_subb_co_u32_e32 v1, vcc, v9, v1, vcc
	s_add_u32 s20, s20, 8
	s_waitcnt lgkmcnt(0)
	v_mul_lo_u32 v8, s2, v1
	v_mul_lo_u32 v9, s3, v7
	v_mad_u64_u32 v[76:77], s[2:3], s2, v7, v[76:77]
	s_addc_u32 s21, s21, 0
	v_add3_u32 v77, v9, v77, v8
	v_mul_lo_u32 v1, s28, v1
	v_mul_lo_u32 v8, s29, v7
	v_mad_u64_u32 v[2:3], s[2:3], s28, v7, v[2:3]
	s_add_u32 s22, s22, 8
	v_add3_u32 v3, v8, v3, v1
	s_addc_u32 s23, s23, 0
	v_mov_b64_e32 v[8:9], s[10:11]
	s_add_u32 s24, s24, 8
	v_cmp_ge_u64_e32 vcc, s[26:27], v[8:9]
	s_addc_u32 s25, s25, 0
	s_cbranch_vccnz .LBB0_9
; %bb.7:                                ;   in Loop: Header=BB0_2 Depth=1
	v_mov_b64_e32 v[8:9], v[4:5]
	s_branch .LBB0_2
.LBB0_8:
	v_mov_b64_e32 v[2:3], v[76:77]
	v_mov_b64_e32 v[4:5], v[8:9]
.LBB0_9:
	s_load_dwordx2 s[0:1], s[0:1], 0x28
	s_lshl_b64 s[20:21], s[10:11], 3
	s_add_u32 s2, s14, s20
	s_addc_u32 s3, s15, s21
                                        ; implicit-def: $sgpr14
                                        ; implicit-def: $vgpr122
                                        ; implicit-def: $vgpr123
	s_waitcnt lgkmcnt(0)
	v_cmp_gt_u64_e32 vcc, s[0:1], v[4:5]
	v_cmp_le_u64_e64 s[0:1], s[0:1], v[4:5]
	s_and_saveexec_b64 s[10:11], s[0:1]
	s_xor_b64 s[0:1], exec, s[10:11]
; %bb.10:
	s_mov_b32 s10, 0x4a7904b
	v_mul_hi_u32 v1, v0, s10
	v_mul_u32_u24_e32 v1, 55, v1
	v_sub_u32_e32 v122, v0, v1
	v_add_u32_e32 v123, 55, v122
	s_mov_b32 s14, 0
                                        ; implicit-def: $vgpr0
                                        ; implicit-def: $vgpr76_vgpr77
; %bb.11:
	s_or_saveexec_b64 s[10:11], s[0:1]
	s_load_dwordx2 s[2:3], s[2:3], 0x0
	v_mov_b32_e32 v7, s14
	v_mov_b32_e32 v6, s14
                                        ; implicit-def: $vgpr14
                                        ; implicit-def: $vgpr1
                                        ; implicit-def: $vgpr62
                                        ; implicit-def: $vgpr70
                                        ; implicit-def: $vgpr68
                                        ; implicit-def: $vgpr26
                                        ; implicit-def: $vgpr18
                                        ; implicit-def: $vgpr20
                                        ; implicit-def: $vgpr16
                                        ; implicit-def: $vgpr24
                                        ; implicit-def: $vgpr32
                                        ; implicit-def: $vgpr22
                                        ; implicit-def: $vgpr30
                                        ; implicit-def: $vgpr36
                                        ; implicit-def: $vgpr34
                                        ; implicit-def: $vgpr56
                                        ; implicit-def: $vgpr67
                                        ; implicit-def: $vgpr64
                                        ; implicit-def: $vgpr42
                                        ; implicit-def: $vgpr46
                                        ; implicit-def: $vgpr52
                                        ; implicit-def: $vgpr60
                                        ; implicit-def: $vgpr75
                                        ; implicit-def: $vgpr72
                                        ; implicit-def: $vgpr50
                                        ; implicit-def: $vgpr54
                                        ; implicit-def: $vgpr10
                                        ; implicit-def: $vgpr12
                                        ; implicit-def: $vgpr48
                                        ; implicit-def: $vgpr58
                                        ; implicit-def: $vgpr38
                                        ; implicit-def: $vgpr8
                                        ; implicit-def: $vgpr44
                                        ; implicit-def: $vgpr28
                                        ; implicit-def: $vgpr40
	s_xor_b64 exec, exec, s[10:11]
	s_cbranch_execz .LBB0_15
; %bb.12:
	s_add_u32 s0, s12, s20
	s_addc_u32 s1, s13, s21
	s_load_dwordx2 s[0:1], s[0:1], 0x0
	s_mov_b32 s12, 0x4a7904b
                                        ; implicit-def: $vgpr23
                                        ; implicit-def: $vgpr33
                                        ; implicit-def: $vgpr25
                                        ; implicit-def: $vgpr21
                                        ; implicit-def: $vgpr19
                                        ; implicit-def: $vgpr26
                                        ; implicit-def: $vgpr68
	s_waitcnt lgkmcnt(0)
	v_mul_lo_u32 v1, s1, v4
	v_mul_lo_u32 v8, s0, v5
	v_mad_u64_u32 v[6:7], s[0:1], s0, v4, 0
	v_add3_u32 v7, v7, v8, v1
	v_mul_hi_u32 v1, v0, s12
	v_mul_u32_u24_e32 v1, 55, v1
	v_sub_u32_e32 v122, v0, v1
	v_mad_u64_u32 v[0:1], s[0:1], s18, v122, 0
	v_mov_b32_e32 v8, v1
	v_mad_u64_u32 v[8:9], s[0:1], s19, v122, v[8:9]
	v_lshl_add_u64 v[6:7], v[6:7], 3, s[4:5]
	v_add_u32_e32 v9, 0x7d, v122
	v_lshl_add_u64 v[62:63], v[76:77], 3, v[6:7]
	v_mad_u64_u32 v[6:7], s[0:1], s18, v9, 0
	v_mov_b32_e32 v1, v8
	v_mov_b32_e32 v8, v7
	v_mad_u64_u32 v[8:9], s[0:1], s19, v9, v[8:9]
	v_add_u32_e32 v11, 0xfa, v122
	v_mov_b32_e32 v7, v8
	v_mad_u64_u32 v[8:9], s[0:1], s18, v11, 0
	v_mov_b32_e32 v10, v9
	v_mad_u64_u32 v[10:11], s[0:1], s19, v11, v[10:11]
	v_add_u32_e32 v13, 0x177, v122
	v_mov_b32_e32 v9, v10
	v_mad_u64_u32 v[10:11], s[0:1], s18, v13, 0
	v_mov_b32_e32 v12, v11
	v_mad_u64_u32 v[12:13], s[0:1], s19, v13, v[12:13]
	v_lshl_add_u64 v[0:1], v[0:1], 3, v[62:63]
	v_lshl_add_u64 v[6:7], v[6:7], 3, v[62:63]
	v_mov_b32_e32 v11, v12
	v_lshl_add_u64 v[8:9], v[8:9], 3, v[62:63]
	v_lshl_add_u64 v[10:11], v[10:11], 3, v[62:63]
	global_load_dwordx2 v[12:13], v[0:1], off
	global_load_dwordx2 v[64:65], v[6:7], off
	;; [unrolled: 1-line block ×4, first 2 shown]
	v_add_u32_e32 v7, 0x1f4, v122
	v_mad_u64_u32 v[0:1], s[0:1], s18, v7, 0
	v_mov_b32_e32 v6, v1
	v_mad_u64_u32 v[6:7], s[0:1], s19, v7, v[6:7]
	v_add_u32_e32 v9, 0x271, v122
	v_mov_b32_e32 v1, v6
	v_mad_u64_u32 v[6:7], s[0:1], s18, v9, 0
	v_mov_b32_e32 v8, v7
	v_mad_u64_u32 v[8:9], s[0:1], s19, v9, v[8:9]
	v_add_u32_e32 v11, 0x2ee, v122
	v_mov_b32_e32 v7, v8
	;; [unrolled: 5-line block ×3, first 2 shown]
	v_mad_u64_u32 v[10:11], s[0:1], s18, v15, 0
	v_mov_b32_e32 v14, v11
	v_mad_u64_u32 v[14:15], s[0:1], s19, v15, v[14:15]
	v_lshl_add_u64 v[0:1], v[0:1], 3, v[62:63]
	v_lshl_add_u64 v[6:7], v[6:7], 3, v[62:63]
	v_mov_b32_e32 v11, v14
	v_lshl_add_u64 v[8:9], v[8:9], 3, v[62:63]
	v_lshl_add_u64 v[10:11], v[10:11], 3, v[62:63]
	global_load_dwordx2 v[58:59], v[0:1], off
	global_load_dwordx2 v[38:39], v[6:7], off
	;; [unrolled: 1-line block ×4, first 2 shown]
	v_add_u32_e32 v7, 0x3e8, v122
	v_mad_u64_u32 v[0:1], s[0:1], s18, v7, 0
	v_mov_b32_e32 v6, v1
	v_mad_u64_u32 v[6:7], s[0:1], s19, v7, v[6:7]
	v_add_u32_e32 v9, 0x465, v122
	v_mov_b32_e32 v1, v6
	v_mad_u64_u32 v[6:7], s[0:1], s18, v9, 0
	v_mov_b32_e32 v8, v7
	v_mad_u64_u32 v[8:9], s[0:1], s19, v9, v[8:9]
	v_add_u32_e32 v11, 0x4e2, v122
	v_mov_b32_e32 v7, v8
	v_mad_u64_u32 v[8:9], s[0:1], s18, v11, 0
	v_mov_b32_e32 v10, v9
	v_mad_u64_u32 v[10:11], s[0:1], s19, v11, v[10:11]
	v_mov_b32_e32 v9, v10
	v_add_u32_e32 v123, 55, v122
	v_lshl_add_u64 v[10:11], v[8:9], 3, v[62:63]
	v_mad_u64_u32 v[8:9], s[0:1], s18, v123, 0
	v_mov_b32_e32 v14, v9
	v_mad_u64_u32 v[14:15], s[0:1], s19, v123, v[14:15]
	v_lshl_add_u64 v[0:1], v[0:1], 3, v[62:63]
	v_lshl_add_u64 v[6:7], v[6:7], 3, v[62:63]
	v_mov_b32_e32 v9, v14
	v_lshl_add_u64 v[14:15], v[8:9], 3, v[62:63]
	global_load_dwordx2 v[72:73], v[0:1], off
	global_load_dwordx2 v[60:61], v[6:7], off
	;; [unrolled: 1-line block ×4, first 2 shown]
	v_add_u32_e32 v7, 0xb4, v122
	v_mad_u64_u32 v[0:1], s[0:1], s18, v7, 0
	v_mov_b32_e32 v6, v1
	v_mad_u64_u32 v[6:7], s[0:1], s19, v7, v[6:7]
	v_add_u32_e32 v11, 0x131, v122
	v_mov_b32_e32 v1, v6
	v_mad_u64_u32 v[6:7], s[0:1], s18, v11, 0
	v_mov_b32_e32 v10, v7
	v_mad_u64_u32 v[10:11], s[0:1], s19, v11, v[10:11]
	v_add_u32_e32 v15, 0x1ae, v122
	v_mov_b32_e32 v7, v10
	v_mad_u64_u32 v[10:11], s[0:1], s18, v15, 0
	v_mov_b32_e32 v14, v11
	v_mad_u64_u32 v[14:15], s[0:1], s19, v15, v[14:15]
	v_add_u32_e32 v17, 0x22b, v122
	v_mov_b32_e32 v11, v14
	v_mad_u64_u32 v[14:15], s[0:1], s18, v17, 0
	v_mov_b32_e32 v16, v15
	v_mad_u64_u32 v[16:17], s[0:1], s19, v17, v[16:17]
	v_lshl_add_u64 v[0:1], v[0:1], 3, v[62:63]
	v_lshl_add_u64 v[6:7], v[6:7], 3, v[62:63]
	v_mov_b32_e32 v15, v16
	v_lshl_add_u64 v[10:11], v[10:11], 3, v[62:63]
	v_lshl_add_u64 v[14:15], v[14:15], 3, v[62:63]
	global_load_dwordx2 v[66:67], v[0:1], off
	global_load_dwordx2 v[44:45], v[6:7], off
	;; [unrolled: 1-line block ×4, first 2 shown]
	v_add_u32_e32 v7, 0x2a8, v122
	v_mad_u64_u32 v[0:1], s[0:1], s18, v7, 0
	v_mov_b32_e32 v6, v1
	v_mad_u64_u32 v[6:7], s[0:1], s19, v7, v[6:7]
	v_add_u32_e32 v11, 0x325, v122
	v_mov_b32_e32 v1, v6
	v_mad_u64_u32 v[6:7], s[0:1], s18, v11, 0
	v_mov_b32_e32 v10, v7
	v_mad_u64_u32 v[10:11], s[0:1], s19, v11, v[10:11]
	v_add_u32_e32 v15, 0x3a2, v122
	v_mov_b32_e32 v7, v10
	;; [unrolled: 5-line block ×3, first 2 shown]
	v_mad_u64_u32 v[14:15], s[0:1], s18, v17, 0
	v_mov_b32_e32 v16, v15
	v_mad_u64_u32 v[16:17], s[0:1], s19, v17, v[16:17]
	v_lshl_add_u64 v[0:1], v[0:1], 3, v[62:63]
	v_lshl_add_u64 v[6:7], v[6:7], 3, v[62:63]
	v_mov_b32_e32 v15, v16
	v_lshl_add_u64 v[10:11], v[10:11], 3, v[62:63]
	v_lshl_add_u64 v[14:15], v[14:15], 3, v[62:63]
	global_load_dwordx2 v[40:41], v[0:1], off
	global_load_dwordx2 v[46:47], v[6:7], off
	;; [unrolled: 1-line block ×4, first 2 shown]
	v_add_u32_e32 v7, 0x49c, v122
	v_mad_u64_u32 v[0:1], s[0:1], s18, v7, 0
	v_mov_b32_e32 v6, v1
	v_mad_u64_u32 v[6:7], s[0:1], s19, v7, v[6:7]
	v_add_u32_e32 v11, 0x519, v122
	v_mov_b32_e32 v1, v6
	v_mad_u64_u32 v[6:7], s[0:1], s18, v11, 0
	v_mov_b32_e32 v10, v7
	v_mad_u64_u32 v[10:11], s[0:1], s19, v11, v[10:11]
	v_lshl_add_u64 v[0:1], v[0:1], 3, v[62:63]
	v_mov_b32_e32 v7, v10
	v_lshl_add_u64 v[6:7], v[6:7], 3, v[62:63]
	global_load_dwordx2 v[56:57], v[0:1], off
	global_load_dwordx2 v[34:35], v[6:7], off
	v_cmp_gt_u32_e64 s[0:1], 15, v122
	v_mov_b32_e32 v6, 0
	v_mov_b32_e32 v7, 0
                                        ; implicit-def: $vgpr11
                                        ; implicit-def: $vgpr17
                                        ; implicit-def: $vgpr0
                                        ; implicit-def: $vgpr15
	s_and_saveexec_b64 s[4:5], s[0:1]
	s_cbranch_execz .LBB0_14
; %bb.13:
	v_add_u32_e32 v7, 0x6e, v122
	v_mad_u64_u32 v[0:1], s[0:1], s18, v7, 0
	v_mov_b32_e32 v6, v1
	v_mad_u64_u32 v[6:7], s[0:1], s19, v7, v[6:7]
	v_add_u32_e32 v11, 0xeb, v122
	v_mov_b32_e32 v1, v6
	v_mad_u64_u32 v[6:7], s[0:1], s18, v11, 0
	v_mov_b32_e32 v10, v7
	v_mad_u64_u32 v[10:11], s[0:1], s19, v11, v[10:11]
	v_mov_b32_e32 v7, v10
	v_lshl_add_u64 v[0:1], v[0:1], 3, v[62:63]
	v_lshl_add_u64 v[14:15], v[6:7], 3, v[62:63]
	global_load_dwordx2 v[6:7], v[0:1], off
	global_load_dwordx2 v[10:11], v[14:15], off
	v_add_u32_e32 v15, 0x168, v122
	v_mad_u64_u32 v[0:1], s[0:1], s18, v15, 0
	v_mov_b32_e32 v14, v1
	v_mad_u64_u32 v[14:15], s[0:1], s19, v15, v[14:15]
	v_mov_b32_e32 v1, v14
	v_add_u32_e32 v17, 0x1e5, v122
	v_lshl_add_u64 v[14:15], v[0:1], 3, v[62:63]
	v_mad_u64_u32 v[0:1], s[0:1], s18, v17, 0
	v_mov_b32_e32 v16, v1
	v_mad_u64_u32 v[16:17], s[0:1], s19, v17, v[16:17]
	v_mov_b32_e32 v1, v16
	v_add_u32_e32 v17, 0x262, v122
	v_lshl_add_u64 v[70:71], v[0:1], 3, v[62:63]
	;; [unrolled: 6-line block ×5, first 2 shown]
	v_mad_u64_u32 v[0:1], s[0:1], s18, v17, 0
	v_mov_b32_e32 v16, v1
	v_mad_u64_u32 v[16:17], s[0:1], s19, v17, v[16:17]
	v_mov_b32_e32 v1, v16
	v_lshl_add_u64 v[32:33], v[0:1], 3, v[62:63]
	global_load_dwordx2 v[0:1], v[26:27], off
	global_load_dwordx2 v[16:17], v[32:33], off
	;; [unrolled: 1-line block ×4, first 2 shown]
	v_add_u32_e32 v25, 0x456, v122
	v_mad_u64_u32 v[22:23], s[0:1], s18, v25, 0
	v_mov_b32_e32 v24, v23
	v_mad_u64_u32 v[24:25], s[0:1], s19, v25, v[24:25]
	v_mov_b32_e32 v23, v24
	v_add_u32_e32 v25, 0x4d3, v122
	v_lshl_add_u64 v[76:77], v[22:23], 3, v[62:63]
	v_mad_u64_u32 v[22:23], s[0:1], s18, v25, 0
	v_mov_b32_e32 v24, v23
	v_mad_u64_u32 v[24:25], s[0:1], s19, v25, v[24:25]
	v_mov_b32_e32 v23, v24
	v_or_b32_e32 v25, 0x550, v122
	v_lshl_add_u64 v[78:79], v[22:23], 3, v[62:63]
	v_mad_u64_u32 v[22:23], s[0:1], s18, v25, 0
	v_mov_b32_e32 v24, v23
	v_mad_u64_u32 v[24:25], s[0:1], s19, v25, v[24:25]
	v_mov_b32_e32 v23, v24
	v_lshl_add_u64 v[62:63], v[22:23], 3, v[62:63]
	global_load_dwordx2 v[24:25], v[76:77], off
	global_load_dwordx2 v[22:23], v[78:79], off
	;; [unrolled: 1-line block ×5, first 2 shown]
	s_waitcnt vmcnt(2)
	v_mov_b32_e32 v15, v27
	s_waitcnt vmcnt(1)
	v_mov_b32_e32 v14, v69
.LBB0_14:
	s_or_b64 exec, exec, s[4:5]
	s_waitcnt vmcnt(7)
	v_mov_b32_e32 v62, v31
	v_mov_b32_e32 v63, v67
	;; [unrolled: 1-line block ×6, first 2 shown]
	s_waitcnt vmcnt(2)
	v_mov_b32_e32 v67, v74
	v_mov_b32_e32 v64, v75
	;; [unrolled: 1-line block ×4, first 2 shown]
.LBB0_15:
	s_or_b64 exec, exec, s[10:11]
	v_add_f32_e32 v27, v12, v37
	s_mov_b32 s26, 0xbf4178ce
	s_mov_b32 s18, 0xbe903f40
	v_pk_add_f32 v[76:77], v[70:71], v[52:53] neg_lo:[0,1] neg_hi:[0,1]
	v_add_f32_e32 v78, v27, v48
	s_mov_b32 s27, 0xbf27a4f4
	s_mov_b32 s19, 0xbf75a155
	v_mov_b32_e32 v79, v52
	s_mov_b32 s20, s26
	s_mov_b32 s21, s18
	;; [unrolled: 1-line block ×4, first 2 shown]
	v_pk_add_f32 v[78:79], v[78:79], v[36:37]
	s_mov_b32 s14, 0x3f0a6770
	s_mov_b32 s12, s27
	;; [unrolled: 1-line block ×3, first 2 shown]
	v_pk_mul_f32 v[82:83], v[76:77], s[20:21] op_sel:[1,0]
	s_mov_b32 s5, 0xbf0a6770
	s_mov_b32 s25, 0xbe11bafb
	;; [unrolled: 1-line block ×4, first 2 shown]
	v_pk_fma_f32 v[80:81], v[78:79], s[12:13], v[82:83] op_sel:[1,0,0] neg_lo:[0,0,1] neg_hi:[0,0,1]
	v_pk_add_f32 v[90:91], v[48:49], v[60:61] neg_lo:[0,1] neg_hi:[0,1]
	s_mov_b32 s11, 0x3f575c64
	s_mov_b32 s10, s25
	v_pk_add_f32 v[84:85], v[80:81], v[12:13] op_sel_hi:[1,0]
	v_pk_add_f32 v[80:81], v[60:61], v[48:49]
	v_pk_mul_f32 v[88:89], v[90:91], s[22:23] op_sel:[1,0]
	v_mov_b32_e32 v74, v70
	v_mov_b32_e32 v73, v36
	v_pk_fma_f32 v[86:87], v[80:81], s[10:11], v[88:89] op_sel_hi:[0,1,1] neg_lo:[0,0,1] neg_hi:[0,0,1]
	s_mov_b32 s36, s5
	s_mov_b32 s37, s26
	v_pk_add_f32 v[92:93], v[74:75], v[72:73] neg_lo:[0,1] neg_hi:[0,1]
	v_pk_add_f32 v[84:85], v[84:85], v[86:87]
	s_mov_b32 s28, s11
	s_mov_b32 s29, s27
	v_pk_add_f32 v[86:87], v[74:75], v[72:73]
	v_pk_mul_f32 v[96:97], v[92:93], s[36:37] op_sel_hi:[0,1]
	s_mov_b32 s48, 0xbf68dda4
	s_mov_b32 s43, 0x3f68dda4
	v_pk_fma_f32 v[94:95], v[86:87], s[28:29], v[96:97] op_sel:[1,0,0] neg_lo:[0,0,1] neg_hi:[0,0,1]
	s_mov_b32 s49, 0x3ed4b147
	s_mov_b32 s38, s18
	;; [unrolled: 1-line block ×3, first 2 shown]
	v_pk_add_f32 v[102:103], v[58:59], v[50:51] neg_lo:[0,1] neg_hi:[0,1]
	v_pk_add_f32 v[84:85], v[84:85], v[94:95]
	s_mov_b32 s30, s19
	s_mov_b32 s31, s49
	v_pk_add_f32 v[94:95], v[50:51], v[58:59]
	v_pk_mul_f32 v[98:99], v[102:103], s[38:39] op_sel:[1,0]
	s_mov_b32 s40, s43
	v_pk_fma_f32 v[100:101], v[94:95], s[30:31], v[98:99] op_sel_hi:[0,1,1] neg_lo:[0,0,1] neg_hi:[0,0,1]
	s_mov_b32 s41, s24
	v_pk_add_f32 v[106:107], v[38:39], v[54:55] neg_lo:[0,1] neg_hi:[0,1]
	v_pk_add_f32 v[84:85], v[84:85], v[100:101]
	s_mov_b32 s34, s49
	s_mov_b32 s35, s25
	v_pk_add_f32 v[100:101], v[54:55], v[38:39]
	v_pk_mul_f32 v[108:109], v[106:107], s[40:41] op_sel:[1,0]
	v_mad_u32_u24 v124, v122, 44, 0
	v_pk_fma_f32 v[104:105], v[100:101], s[34:35], v[108:109] op_sel_hi:[0,1,1] neg_lo:[0,0,1] neg_hi:[0,0,1]
	v_pk_add_f32 v[84:85], v[84:85], v[104:105]
	s_mov_b32 s44, s48
	s_mov_b32 s45, s24
	ds_write2_b32 v124, v85, v84 offset0:6 offset1:7
	s_mov_b32 s47, 0x3e903f40
	s_mov_b32 s46, s26
	v_pk_mul_f32 v[84:85], v[76:77], s[44:45] op_sel:[1,0]
	v_pk_mul_f32 v[110:111], v[90:91], s[46:47] op_sel:[1,0]
	v_pk_fma_f32 v[104:105], v[78:79], s[34:35], v[84:85] op_sel:[1,0,0] neg_lo:[0,0,1] neg_hi:[0,0,1]
	v_pk_fma_f32 v[112:113], v[80:81], s[12:13], v[110:111] op_sel_hi:[0,1,1] neg_lo:[0,0,1] neg_hi:[0,0,1]
	v_pk_add_f32 v[104:105], v[104:105], v[12:13] op_sel_hi:[1,0]
	s_mov_b32 s42, s47
	v_pk_add_f32 v[104:105], v[104:105], v[112:113]
	v_pk_mul_f32 v[112:113], v[92:93], s[42:43] op_sel_hi:[0,1]
	v_pk_fma_f32 v[114:115], v[86:87], s[30:31], v[112:113] op_sel:[1,0,0] neg_lo:[0,0,1] neg_hi:[0,0,1]
	s_mov_b32 s15, s26
	v_pk_add_f32 v[104:105], v[104:105], v[114:115]
	v_pk_mul_f32 v[114:115], v[102:103], s[4:5] op_sel:[1,0]
	v_mov_b32_e32 v93, v87
	v_pk_fma_f32 v[116:117], v[94:95], s[10:11], v[114:115] op_sel_hi:[0,1,1] neg_lo:[0,0,1] neg_hi:[0,0,1]
	v_pk_add_f32 v[104:105], v[104:105], v[116:117]
	v_pk_mul_f32 v[116:117], v[106:107], s[14:15] op_sel:[1,0]
	v_pk_mul_f32 v[128:129], v[92:93], s[24:25]
	v_pk_fma_f32 v[118:119], v[100:101], s[28:29], v[116:117] op_sel_hi:[0,1,1] neg_lo:[0,0,1] neg_hi:[0,0,1]
	v_pk_add_f32 v[104:105], v[104:105], v[118:119]
	ds_write2_b32 v124, v105, v104 offset0:8 offset1:9
	v_mov_b32_e32 v104, v91
	v_mov_b32_e32 v105, v80
	v_pk_mul_f32 v[126:127], v[104:105], s[48:49]
	v_pk_add_f32 v[136:137], v[78:79], v[58:59]
	v_mov_b32_e32 v27, v126
	v_pk_fma_f32 v[118:119], v[104:105], s[48:49], v[26:27]
	v_mov_b32_e32 v104, v103
	v_mov_b32_e32 v105, v94
	;; [unrolled: 1-line block ×3, first 2 shown]
	v_pk_mul_f32 v[130:131], v[104:105], s[26:27]
	v_pk_fma_f32 v[92:93], v[92:93], s[24:25], v[26:27]
	v_mov_b32_e32 v27, v130
	v_pk_fma_f32 v[120:121], v[104:105], s[26:27], v[26:27]
	v_mov_b32_e32 v104, v107
	v_mov_b32_e32 v105, v100
	v_pk_mul_f32 v[132:133], v[104:105], s[18:19]
	v_mul_f32_e32 v141, 0xbf0a6770, v77
	v_mov_b32_e32 v27, v132
	v_pk_fma_f32 v[134:135], v[104:105], s[18:19], v[26:27]
	v_mov_b32_e32 v105, 0x3f575c64
	v_mov_b32_e32 v104, v58
	v_pk_mul_f32 v[138:139], v[78:79], v[104:105]
	v_mov_b32_e32 v140, v38
	v_mov_b32_e32 v137, v139
	v_pk_add_f32 v[136:137], v[136:137], v[140:141]
	v_mov_b32_e32 v140, v54
	v_mov_b32_e32 v141, v12
	v_pk_add_f32 v[136:137], v[136:137], v[140:141]
	v_mov_b32_e32 v118, v50
	v_fmac_f32_e32 v139, 0x3f0a6770, v77
	v_pk_add_f32 v[76:77], v[118:119], v[136:137]
	v_mov_b32_e32 v92, v75
	v_pk_add_f32 v[76:77], v[92:93], v[76:77]
	v_mov_b32_e32 v120, v60
	;; [unrolled: 2-line block ×3, first 2 shown]
	v_pk_add_f32 v[76:77], v[134:135], v[76:77]
	v_pk_fma_f32 v[84:85], v[78:79], s[34:35], v[84:85] op_sel:[1,0,0]
	ds_write2_b32 v124, v76, v77 offset1:1
	v_pk_fma_f32 v[76:77], v[80:81], s[12:13], v[110:111] op_sel_hi:[0,1,1]
	v_pk_add_f32 v[84:85], v[84:85], v[12:13] op_sel_hi:[1,0]
	v_add_f32_e32 v27, v8, v31
	v_pk_add_f32 v[76:77], v[84:85], v[76:77]
	v_pk_fma_f32 v[84:85], v[86:87], s[30:31], v[112:113] op_sel:[1,0,0]
	v_mov_b32_e32 v66, v62
	v_pk_add_f32 v[76:77], v[76:77], v[84:85]
	v_pk_fma_f32 v[84:85], v[94:95], s[10:11], v[114:115] op_sel_hi:[0,1,1]
	v_pk_add_f32 v[76:77], v[76:77], v[84:85]
	v_pk_fma_f32 v[84:85], v[100:101], s[28:29], v[116:117] op_sel_hi:[0,1,1]
	v_pk_add_f32 v[76:77], v[76:77], v[84:85]
	ds_write2_b32 v124, v76, v77 offset0:2 offset1:3
	v_pk_fma_f32 v[76:77], v[78:79], s[12:13], v[82:83] op_sel:[1,0,0]
	v_pk_fma_f32 v[78:79], v[80:81], s[10:11], v[88:89] op_sel_hi:[0,1,1]
	v_pk_add_f32 v[76:77], v[76:77], v[12:13] op_sel_hi:[1,0]
	s_waitcnt vmcnt(1)
	v_pk_add_f32 v[116:117], v[44:45], v[56:57] neg_lo:[0,1] neg_hi:[0,1]
	v_pk_add_f32 v[76:77], v[76:77], v[78:79]
	v_pk_fma_f32 v[78:79], v[86:87], s[28:29], v[96:97] op_sel:[1,0,0]
	v_pk_mul_f32 v[88:89], v[116:117], s[22:23] op_sel:[1,0]
	v_pk_add_f32 v[76:77], v[76:77], v[78:79]
	v_pk_fma_f32 v[78:79], v[94:95], s[30:31], v[98:99] op_sel_hi:[0,1,1]
	v_pk_add_f32 v[76:77], v[76:77], v[78:79]
	v_pk_fma_f32 v[78:79], v[100:101], s[34:35], v[108:109] op_sel_hi:[0,1,1]
	v_pk_add_f32 v[76:77], v[76:77], v[78:79]
	ds_write2_b32 v124, v76, v77 offset0:4 offset1:5
	v_add_f32_e32 v76, v27, v44
	s_waitcnt vmcnt(0)
	v_mov_b32_e32 v77, v34
	v_pk_add_f32 v[78:79], v[62:63], v[34:35] neg_lo:[0,1] neg_hi:[0,1]
	v_pk_add_f32 v[76:77], v[76:77], v[30:31]
	v_pk_mul_f32 v[82:83], v[78:79], s[20:21] op_sel:[1,0]
	v_pk_add_f32 v[108:109], v[56:57], v[44:45]
	v_pk_fma_f32 v[84:85], v[76:77], s[12:13], v[82:83] op_sel:[1,0,0] neg_lo:[0,0,1] neg_hi:[0,0,1]
	v_pk_fma_f32 v[92:93], v[108:109], s[10:11], v[88:89] op_sel_hi:[0,1,1] neg_lo:[0,0,1] neg_hi:[0,0,1]
	v_pk_add_f32 v[84:85], v[84:85], v[8:9] op_sel_hi:[1,0]
	v_mov_b32_e32 v65, v30
	v_pk_add_f32 v[84:85], v[84:85], v[92:93]
	v_pk_add_f32 v[92:93], v[66:67], v[64:65] neg_lo:[0,1] neg_hi:[0,1]
	v_pk_add_f32 v[112:113], v[66:67], v[64:65]
	v_pk_mul_f32 v[96:97], v[92:93], s[36:37] op_sel_hi:[0,1]
	v_pk_fma_f32 v[98:99], v[112:113], s[28:29], v[96:97] op_sel:[1,0,0] neg_lo:[0,0,1] neg_hi:[0,0,1]
	v_pk_add_f32 v[118:119], v[28:29], v[42:43] neg_lo:[0,1] neg_hi:[0,1]
	v_pk_add_f32 v[84:85], v[84:85], v[98:99]
	v_pk_add_f32 v[110:111], v[42:43], v[28:29]
	v_pk_mul_f32 v[98:99], v[118:119], s[38:39] op_sel:[1,0]
	v_sub_f32_e32 v27, v127, v126
	v_add_f32_e32 v44, v139, v12
	v_pk_fma_f32 v[114:115], v[110:111], s[30:31], v[98:99] op_sel_hi:[0,1,1] neg_lo:[0,0,1] neg_hi:[0,0,1]
	v_pk_add_f32 v[120:121], v[40:41], v[46:47] neg_lo:[0,1] neg_hi:[0,1]
	v_sub_f32_e32 v30, v129, v128
	v_add_f32_e32 v27, v44, v27
	v_pk_add_f32 v[84:85], v[84:85], v[114:115]
	v_pk_add_f32 v[114:115], v[46:47], v[40:41]
	v_pk_mul_f32 v[134:135], v[120:121], s[40:41] op_sel:[1,0]
	v_sub_f32_e32 v36, v131, v130
	v_add_f32_e32 v27, v27, v30
	v_pk_fma_f32 v[136:137], v[114:115], s[34:35], v[134:135] op_sel_hi:[0,1,1] neg_lo:[0,0,1] neg_hi:[0,0,1]
	v_sub_f32_e32 v38, v133, v132
	v_add_f32_e32 v27, v27, v36
	v_pk_add_f32 v[84:85], v[84:85], v[136:137]
	v_add_f32_e32 v27, v27, v38
	v_mad_i32_i24 v60, v123, 44, 0
	ds_write_b32 v124, v27 offset:40
	ds_write2_b32 v60, v85, v84 offset0:6 offset1:7
	v_pk_mul_f32 v[84:85], v[78:79], s[44:45] op_sel:[1,0]
	v_pk_mul_f32 v[128:129], v[116:117], s[46:47] op_sel:[1,0]
	v_pk_fma_f32 v[126:127], v[76:77], s[34:35], v[84:85] op_sel:[1,0,0] neg_lo:[0,0,1] neg_hi:[0,0,1]
	v_pk_fma_f32 v[130:131], v[108:109], s[12:13], v[128:129] op_sel_hi:[0,1,1] neg_lo:[0,0,1] neg_hi:[0,0,1]
	v_pk_add_f32 v[126:127], v[126:127], v[8:9] op_sel_hi:[1,0]
	v_mov_b32_e32 v104, v28
	v_pk_add_f32 v[126:127], v[126:127], v[130:131]
	v_pk_mul_f32 v[130:131], v[92:93], s[42:43] op_sel_hi:[0,1]
	v_pk_fma_f32 v[132:133], v[112:113], s[30:31], v[130:131] op_sel:[1,0,0] neg_lo:[0,0,1] neg_hi:[0,0,1]
	v_mov_b32_e32 v93, v113
	v_pk_add_f32 v[126:127], v[126:127], v[132:133]
	v_pk_mul_f32 v[132:133], v[118:119], s[4:5] op_sel:[1,0]
	v_pk_add_f32 v[150:151], v[76:77], v[28:29]
	v_pk_fma_f32 v[136:137], v[110:111], s[10:11], v[132:133] op_sel_hi:[0,1,1] neg_lo:[0,0,1] neg_hi:[0,0,1]
	v_pk_add_f32 v[126:127], v[126:127], v[136:137]
	v_pk_mul_f32 v[136:137], v[120:121], s[14:15] op_sel:[1,0]
	v_pk_mul_f32 v[152:153], v[76:77], v[104:105]
	v_pk_fma_f32 v[138:139], v[114:115], s[28:29], v[136:137] op_sel_hi:[0,1,1] neg_lo:[0,0,1] neg_hi:[0,0,1]
	v_pk_add_f32 v[126:127], v[126:127], v[138:139]
	ds_write2_b32 v60, v127, v126 offset0:8 offset1:9
	v_mov_b32_e32 v126, v117
	v_mov_b32_e32 v127, v108
	v_pk_mul_f32 v[138:139], v[126:127], s[48:49]
	v_pk_mul_f32 v[140:141], v[92:93], s[24:25]
	v_mov_b32_e32 v27, v138
	v_mov_b32_e32 v142, v119
	;; [unrolled: 1-line block ×4, first 2 shown]
	v_mul_f32_e32 v155, 0xbf0a6770, v79
	v_mov_b32_e32 v154, v40
	v_pk_fma_f32 v[126:127], v[126:127], s[48:49], v[26:27]
	v_mov_b32_e32 v27, v140
	v_pk_mul_f32 v[144:145], v[142:143], s[26:27]
	v_mov_b32_e32 v146, v121
	v_mov_b32_e32 v147, v114
	v_pk_add_f32 v[150:151], v[150:151], v[154:155]
	v_mov_b32_e32 v154, v46
	v_mov_b32_e32 v155, v8
	v_pk_fma_f32 v[92:93], v[92:93], s[24:25], v[26:27]
	v_mov_b32_e32 v27, v144
	v_pk_mul_f32 v[148:149], v[146:147], s[18:19]
	v_pk_add_f32 v[150:151], v[150:151], v[154:155]
	v_mov_b32_e32 v126, v42
	v_pk_fma_f32 v[142:143], v[142:143], s[26:27], v[26:27]
	v_mov_b32_e32 v27, v148
	v_fmac_f32_e32 v153, 0x3f0a6770, v79
	v_pk_add_f32 v[78:79], v[126:127], v[150:151]
	v_mov_b32_e32 v92, v67
	v_pk_fma_f32 v[146:147], v[146:147], s[18:19], v[26:27]
	v_pk_add_f32 v[78:79], v[92:93], v[78:79]
	v_mov_b32_e32 v142, v56
	v_pk_add_f32 v[78:79], v[142:143], v[78:79]
	v_mov_b32_e32 v146, v34
	v_pk_add_f32 v[78:79], v[146:147], v[78:79]
	v_pk_fma_f32 v[84:85], v[76:77], s[34:35], v[84:85] op_sel:[1,0,0]
	ds_write2_b32 v60, v78, v79 offset1:1
	v_pk_fma_f32 v[78:79], v[108:109], s[12:13], v[128:129] op_sel_hi:[0,1,1]
	v_pk_add_f32 v[84:85], v[84:85], v[8:9] op_sel_hi:[1,0]
	v_pk_fma_f32 v[76:77], v[76:77], s[12:13], v[82:83] op_sel:[1,0,0]
	v_pk_add_f32 v[78:79], v[84:85], v[78:79]
	v_pk_fma_f32 v[84:85], v[112:113], s[30:31], v[130:131] op_sel:[1,0,0]
	v_pk_add_f32 v[76:77], v[76:77], v[8:9] op_sel_hi:[1,0]
	v_pk_add_f32 v[78:79], v[78:79], v[84:85]
	v_pk_fma_f32 v[84:85], v[110:111], s[10:11], v[132:133] op_sel_hi:[0,1,1]
	v_pk_add_f32 v[78:79], v[78:79], v[84:85]
	v_pk_fma_f32 v[84:85], v[114:115], s[28:29], v[136:137] op_sel_hi:[0,1,1]
	v_pk_add_f32 v[78:79], v[78:79], v[84:85]
	ds_write2_b32 v60, v78, v79 offset0:2 offset1:3
	v_pk_fma_f32 v[78:79], v[108:109], s[10:11], v[88:89] op_sel_hi:[0,1,1]
	v_sub_f32_e32 v27, v139, v138
	v_add_f32_e32 v38, v153, v8
	v_pk_add_f32 v[76:77], v[76:77], v[78:79]
	v_pk_fma_f32 v[78:79], v[112:113], s[28:29], v[96:97] op_sel:[1,0,0]
	v_sub_f32_e32 v28, v141, v140
	v_add_f32_e32 v27, v38, v27
	v_pk_add_f32 v[76:77], v[76:77], v[78:79]
	v_pk_fma_f32 v[78:79], v[110:111], s[30:31], v[98:99] op_sel_hi:[0,1,1]
	v_sub_f32_e32 v30, v145, v144
	v_add_f32_e32 v27, v27, v28
	v_pk_add_f32 v[76:77], v[76:77], v[78:79]
	v_pk_fma_f32 v[78:79], v[114:115], s[34:35], v[134:135] op_sel_hi:[0,1,1]
	v_sub_f32_e32 v36, v149, v148
	v_add_f32_e32 v27, v27, v30
	v_pk_add_f32 v[76:77], v[76:77], v[78:79]
	v_add_f32_e32 v27, v27, v36
	v_mov_b32_e32 v69, v14
	ds_write2_b32 v60, v76, v77 offset0:4 offset1:5
	ds_write_b32 v60, v27 offset:40
	v_mov_b32_e32 v27, v26
	v_cmp_gt_u32_e64 s[0:1], 15, v122
	v_pk_add_f32 v[82:83], v[32:33], v[22:23]
	v_pk_add_f32 v[98:99], v[32:33], v[22:23] neg_lo:[0,1] neg_hi:[0,1]
	v_pk_add_f32 v[84:85], v[68:69], v[24:25]
	v_pk_add_f32 v[96:97], v[68:69], v[24:25] neg_lo:[0,1] neg_hi:[0,1]
	;; [unrolled: 2-line block ×4, first 2 shown]
	s_and_saveexec_b64 s[50:51], s[0:1]
	s_cbranch_execz .LBB0_17
; %bb.16:
	v_mov_b32_e32 v130, v99
	v_mov_b32_e32 v131, v82
	v_pk_mul_f32 v[136:137], v[130:131], s[48:49]
	v_mov_b32_e32 v138, v97
	v_mov_b32_e32 v139, v84
	;; [unrolled: 1-line block ×3, first 2 shown]
	v_pk_mul_f32 v[140:141], v[138:139], s[24:25]
	v_mov_b32_e32 v125, v136
	v_mov_b32_e32 v0, v6
	v_sub_f32_e32 v30, v141, v140
	v_pk_fma_f32 v[130:131], v[130:131], s[48:49], v[124:125]
	v_mov_b32_e32 v125, v140
	v_pk_add_f32 v[140:141], v[0:1], v[10:11]
	v_mov_b32_e32 v69, v26
	v_pk_add_f32 v[140:141], v[140:141], v[32:33]
	v_mov_b32_e32 v132, v93
	v_mov_b32_e32 v133, v76
	;; [unrolled: 1-line block ×3, first 2 shown]
	v_pk_mul_f32 v[142:143], v[132:133], s[26:27]
	v_pk_add_f32 v[68:69], v[140:141], v[68:69]
	v_mov_b32_e32 v104, v20
	v_pk_add_f32 v[128:129], v[10:11], v[14:15] neg_lo:[0,1] neg_hi:[0,1]
	v_sub_f32_e32 v28, v137, v136
	v_sub_f32_e32 v36, v143, v142
	v_pk_fma_f32 v[136:137], v[138:139], s[24:25], v[124:125]
	v_mov_b32_e32 v125, v142
	v_pk_add_f32 v[140:141], v[68:69], v[20:21]
	v_pk_mul_f32 v[142:143], v[68:69], v[104:105]
	v_mul_f32_e32 v135, 0xbf0a6770, v129
	v_mov_b32_e32 v141, v143
	v_mov_b32_e32 v134, v18
	;; [unrolled: 1-line block ×5, first 2 shown]
	v_pk_add_f32 v[134:135], v[140:141], v[134:135]
	v_pk_mul_f32 v[146:147], v[144:145], s[18:19]
	v_pk_add_f32 v[134:135], v[134:135], v[126:127]
	v_mov_b32_e32 v130, v16
	v_pk_fma_f32 v[132:133], v[132:133], s[26:27], v[124:125]
	v_mov_b32_e32 v125, v146
	v_pk_add_f32 v[130:131], v[130:131], v[134:135]
	v_mov_b32_e32 v136, v24
	v_pk_fma_f32 v[138:139], v[144:145], s[18:19], v[124:125]
	v_pk_add_f32 v[130:131], v[136:137], v[130:131]
	v_mov_b32_e32 v132, v22
	v_pk_add_f32 v[130:131], v[132:133], v[130:131]
	v_mov_b32_e32 v138, v26
	v_add_u32_e32 v0, 0x12e8, v124
	v_pk_add_f32 v[130:131], v[138:139], v[130:131]
	v_pk_mul_f32 v[138:139], v[128:129], s[44:45] op_sel:[1,0]
	ds_write2_b32 v0, v130, v131 offset1:1
	v_pk_mul_f32 v[130:131], v[98:99], s[46:47] op_sel:[1,0]
	v_pk_fma_f32 v[148:149], v[68:69], s[34:35], v[138:139] op_sel:[1,0,0]
	v_fmac_f32_e32 v143, 0x3f0a6770, v129
	v_pk_mul_f32 v[132:133], v[96:97], s[42:43] op_sel:[1,0]
	v_pk_fma_f32 v[140:141], v[82:83], s[12:13], v[130:131] op_sel_hi:[0,1,1]
	v_pk_add_f32 v[148:149], v[126:127], v[148:149] op_sel:[1,0]
	v_add_f32_e32 v6, v6, v143
	v_pk_mul_f32 v[134:135], v[92:93], s[4:5] op_sel:[1,0]
	v_pk_fma_f32 v[142:143], v[84:85], s[30:31], v[132:133] op_sel_hi:[0,1,1]
	v_pk_add_f32 v[140:141], v[148:149], v[140:141]
	v_pk_mul_f32 v[136:137], v[88:89], s[14:15] op_sel:[1,0]
	v_pk_fma_f32 v[144:145], v[76:77], s[10:11], v[134:135] op_sel_hi:[0,1,1]
	v_pk_add_f32 v[140:141], v[140:141], v[142:143]
	v_sub_f32_e32 v38, v147, v146
	v_pk_fma_f32 v[146:147], v[78:79], s[28:29], v[136:137] op_sel_hi:[0,1,1]
	v_pk_add_f32 v[140:141], v[140:141], v[144:145]
	v_add_u32_e32 v0, 0x12f0, v124
	v_pk_add_f32 v[140:141], v[140:141], v[146:147]
	v_pk_mul_f32 v[128:129], v[128:129], s[20:21] op_sel:[1,0]
	ds_write2_b32 v0, v140, v141 offset1:1
	v_pk_mul_f32 v[140:141], v[98:99], s[22:23] op_sel:[1,0]
	v_pk_fma_f32 v[156:157], v[68:69], s[12:13], v[128:129] op_sel:[1,0,0]
	v_pk_fma_f32 v[128:129], v[68:69], s[12:13], v[128:129] op_sel:[1,0,0] neg_lo:[0,0,1] neg_hi:[0,0,1]
	v_pk_mul_f32 v[142:143], v[96:97], s[36:37] op_sel:[1,0]
	v_pk_fma_f32 v[148:149], v[82:83], s[10:11], v[140:141] op_sel_hi:[0,1,1]
	v_pk_fma_f32 v[140:141], v[82:83], s[10:11], v[140:141] op_sel_hi:[0,1,1] neg_lo:[0,0,1] neg_hi:[0,0,1]
	v_pk_add_f32 v[128:129], v[126:127], v[128:129] op_sel:[1,0]
	v_pk_mul_f32 v[144:145], v[92:93], s[38:39] op_sel:[1,0]
	v_pk_fma_f32 v[150:151], v[84:85], s[28:29], v[142:143] op_sel_hi:[0,1,1]
	v_pk_fma_f32 v[142:143], v[84:85], s[28:29], v[142:143] op_sel_hi:[0,1,1] neg_lo:[0,0,1] neg_hi:[0,0,1]
	v_pk_add_f32 v[128:129], v[128:129], v[140:141]
	v_pk_mul_f32 v[146:147], v[88:89], s[40:41] op_sel:[1,0]
	v_pk_fma_f32 v[152:153], v[76:77], s[30:31], v[144:145] op_sel_hi:[0,1,1]
	v_pk_fma_f32 v[144:145], v[76:77], s[30:31], v[144:145] op_sel_hi:[0,1,1] neg_lo:[0,0,1] neg_hi:[0,0,1]
	v_pk_add_f32 v[128:129], v[128:129], v[142:143]
	v_pk_fma_f32 v[154:155], v[78:79], s[34:35], v[146:147] op_sel_hi:[0,1,1]
	v_pk_fma_f32 v[146:147], v[78:79], s[34:35], v[146:147] op_sel_hi:[0,1,1] neg_lo:[0,0,1] neg_hi:[0,0,1]
	v_pk_add_f32 v[128:129], v[128:129], v[144:145]
	v_add_u32_e32 v16, 0x1300, v124
	v_pk_add_f32 v[128:129], v[128:129], v[146:147]
	v_pk_fma_f32 v[68:69], v[68:69], s[34:35], v[138:139] op_sel:[1,0,0] neg_lo:[0,0,1] neg_hi:[0,0,1]
	v_pk_add_f32 v[156:157], v[126:127], v[156:157] op_sel:[1,0]
	ds_write2_b32 v16, v129, v128 offset1:1
	v_pk_fma_f32 v[128:129], v[82:83], s[12:13], v[130:131] op_sel_hi:[0,1,1] neg_lo:[0,0,1] neg_hi:[0,0,1]
	v_pk_add_f32 v[68:69], v[126:127], v[68:69] op_sel:[1,0]
	v_pk_add_f32 v[148:149], v[156:157], v[148:149]
	v_pk_fma_f32 v[130:131], v[84:85], s[30:31], v[132:133] op_sel_hi:[0,1,1] neg_lo:[0,0,1] neg_hi:[0,0,1]
	v_pk_add_f32 v[68:69], v[68:69], v[128:129]
	v_add_f32_e32 v6, v6, v28
	v_pk_add_f32 v[148:149], v[148:149], v[150:151]
	v_pk_fma_f32 v[132:133], v[76:77], s[10:11], v[134:135] op_sel_hi:[0,1,1] neg_lo:[0,0,1] neg_hi:[0,0,1]
	v_pk_add_f32 v[68:69], v[68:69], v[130:131]
	v_add_f32_e32 v6, v6, v30
	v_pk_add_f32 v[148:149], v[148:149], v[152:153]
	v_pk_fma_f32 v[134:135], v[78:79], s[28:29], v[136:137] op_sel_hi:[0,1,1] neg_lo:[0,0,1] neg_hi:[0,0,1]
	v_pk_add_f32 v[68:69], v[68:69], v[132:133]
	v_add_f32_e32 v6, v6, v36
	v_add_u32_e32 v0, 0x12f8, v124
	v_pk_add_f32 v[148:149], v[148:149], v[154:155]
	v_add_u32_e32 v16, 0x1308, v124
	v_pk_add_f32 v[68:69], v[68:69], v[134:135]
	v_add_f32_e32 v6, v6, v38
	ds_write2_b32 v0, v148, v149 offset1:1
	v_mov_b32_e32 v0, v69
	ds_write2_b32 v16, v69, v68 offset1:1
	ds_write_b32 v124, v6 offset:4880
.LBB0_17:
	s_or_b64 exec, exec, s[50:51]
	v_add_f32_e32 v6, v13, v71
	v_mov_b32_e32 v0, v37
	v_pk_add_f32 v[36:37], v[0:1], v[52:53] neg_lo:[0,1] neg_hi:[0,1]
	v_add_f32_e32 v52, v6, v49
	v_mov_b32_e32 v48, v81
	v_mov_b32_e32 v49, v90
	s_mov_b32 s50, s49
	s_mov_b32 s51, s48
	v_pk_mul_f32 v[126:127], v[48:49], s[50:51]
	v_pk_add_f32 v[70:71], v[52:53], v[70:71]
	v_mov_b32_e32 v125, v126
	v_mov_b32_e32 v104, v59
	v_mul_f32_e32 v69, 0xbf0a6770, v36
	v_pk_fma_f32 v[48:49], v[48:49], s[50:51], v[124:125] neg_lo:[1,0,0] neg_hi:[1,0,0]
	v_pk_add_f32 v[74:75], v[72:73], v[74:75] neg_lo:[0,1] neg_hi:[0,1]
	v_pk_add_f32 v[58:59], v[70:71], v[104:105]
	v_mov_b32_e32 v68, v39
	v_add_f32_e32 v0, v126, v127
	v_mov_b32_e32 v126, v86
	v_mov_b32_e32 v127, v75
	s_mov_b32 s48, s25
	s_mov_b32 s49, s24
	v_mov_b32_e32 v48, v51
	v_pk_add_f32 v[38:39], v[58:59], v[68:69]
	v_pk_fma_f32 v[50:51], v[70:71], v[104:105], v[68:69] neg_lo:[0,0,1] neg_hi:[0,0,1]
	v_pk_mul_f32 v[128:129], v[126:127], s[48:49]
	v_mov_b32_e32 v54, v55
	v_mov_b32_e32 v55, v13
	;; [unrolled: 1-line block ×4, first 2 shown]
	v_add_f32_e32 v6, v128, v129
	v_mov_b32_e32 v128, v95
	v_mov_b32_e32 v129, v102
	s_mov_b32 s24, s27
	s_mov_b32 s25, s26
	v_pk_add_f32 v[38:39], v[38:39], v[54:55]
	v_pk_mul_f32 v[130:131], v[128:129], s[24:25]
	v_pk_add_f32 v[38:39], v[48:49], v[38:39]
	v_mov_b32_e32 v48, v101
	v_mov_b32_e32 v49, v106
	s_mov_b32 s26, s19
	s_mov_b32 s27, s18
	v_pk_fma_f32 v[126:127], v[126:127], s[48:49], v[72:73] neg_lo:[1,0,0] neg_hi:[1,0,0]
	v_mov_b32_e32 v73, v130
	v_pk_mul_f32 v[50:51], v[48:49], s[26:27]
	v_pk_fma_f32 v[128:129], v[128:129], s[24:25], v[72:73] neg_lo:[1,0,0] neg_hi:[1,0,0]
	v_mov_b32_e32 v73, v127
	v_mul_f32_e32 v16, 0x3f575c64, v71
	v_mov_b32_e32 v55, v50
	v_mov_b32_e32 v128, v61
	v_fmac_f32_e32 v16, 0xbf0a6770, v36
	v_pk_add_f32 v[38:39], v[72:73], v[38:39]
	v_pk_fma_f32 v[48:49], v[48:49], s[26:27], v[54:55] neg_lo:[1,0,0] neg_hi:[1,0,0]
	v_add_f32_e32 v16, v16, v13
	v_pk_add_f32 v[38:39], v[128:129], v[38:39]
	v_mov_b32_e32 v48, v53
	v_add_f32_e32 v0, v16, v0
	v_pk_add_f32 v[52:53], v[48:49], v[38:39]
	v_pk_mul_f32 v[38:39], v[36:37], s[44:45] op_sel_hi:[0,1]
	v_add_f32_e32 v0, v0, v6
	v_add_f32_e32 v6, v130, v131
	v_pk_mul_f32 v[48:49], v[90:91], s[46:47] op_sel_hi:[0,1]
	v_pk_fma_f32 v[68:69], v[70:71], s[34:35], v[38:39] op_sel:[1,0,0] neg_lo:[0,0,1] neg_hi:[0,0,1]
	v_add_f32_e32 v0, v0, v6
	v_add_f32_e32 v6, v50, v51
	v_pk_fma_f32 v[50:51], v[80:81], s[12:13], v[48:49] op_sel:[1,0,0] neg_lo:[0,0,1] neg_hi:[0,0,1]
	v_pk_mul_f32 v[54:55], v[74:75], s[42:43] op_sel:[1,0]
	v_pk_add_f32 v[68:69], v[68:69], v[12:13] op_sel:[0,1]
	v_pk_fma_f32 v[58:59], v[86:87], s[30:31], v[54:55] op_sel_hi:[0,1,1] neg_lo:[0,0,1] neg_hi:[0,0,1]
	v_pk_add_f32 v[50:51], v[68:69], v[50:51]
	v_pk_fma_f32 v[38:39], v[70:71], s[34:35], v[38:39] op_sel:[1,0,0]
	v_pk_add_f32 v[50:51], v[50:51], v[58:59]
	v_pk_mul_f32 v[58:59], v[102:103], s[4:5] op_sel_hi:[0,1]
	v_pk_fma_f32 v[68:69], v[94:95], s[10:11], v[58:59] op_sel:[1,0,0] neg_lo:[0,0,1] neg_hi:[0,0,1]
	v_pk_fma_f32 v[48:49], v[80:81], s[12:13], v[48:49] op_sel:[1,0,0]
	v_pk_add_f32 v[50:51], v[50:51], v[68:69]
	v_pk_mul_f32 v[68:69], v[106:107], s[14:15] op_sel_hi:[0,1]
	v_pk_fma_f32 v[72:73], v[100:101], s[28:29], v[68:69] op_sel:[1,0,0] neg_lo:[0,0,1] neg_hi:[0,0,1]
	v_pk_add_f32 v[38:39], v[38:39], v[12:13] op_sel:[0,1]
	v_pk_add_f32 v[72:73], v[50:51], v[72:73]
	v_pk_fma_f32 v[50:51], v[86:87], s[30:31], v[54:55] op_sel_hi:[0,1,1]
	v_pk_add_f32 v[38:39], v[38:39], v[48:49]
	v_pk_fma_f32 v[48:49], v[94:95], s[10:11], v[58:59] op_sel:[1,0,0]
	v_pk_add_f32 v[38:39], v[38:39], v[50:51]
	v_pk_mul_f32 v[36:37], v[36:37], s[20:21] op_sel_hi:[0,1]
	v_pk_add_f32 v[38:39], v[38:39], v[48:49]
	v_pk_fma_f32 v[48:49], v[100:101], s[28:29], v[68:69] op_sel:[1,0,0]
	v_pk_fma_f32 v[58:59], v[70:71], s[12:13], v[36:37] op_sel:[1,0,0] neg_lo:[0,0,1] neg_hi:[0,0,1]
	v_pk_add_f32 v[68:69], v[38:39], v[48:49]
	v_pk_mul_f32 v[38:39], v[90:91], s[22:23] op_sel_hi:[0,1]
	v_pk_fma_f32 v[48:49], v[80:81], s[10:11], v[38:39] op_sel:[1,0,0] neg_lo:[0,0,1] neg_hi:[0,0,1]
	v_pk_mul_f32 v[50:51], v[74:75], s[36:37] op_sel:[1,0]
	v_pk_add_f32 v[58:59], v[58:59], v[12:13] op_sel:[0,1]
	v_pk_fma_f32 v[54:55], v[86:87], s[28:29], v[50:51] op_sel_hi:[0,1,1] neg_lo:[0,0,1] neg_hi:[0,0,1]
	v_pk_add_f32 v[48:49], v[58:59], v[48:49]
	v_pk_fma_f32 v[36:37], v[70:71], s[12:13], v[36:37] op_sel:[1,0,0]
	v_pk_add_f32 v[48:49], v[48:49], v[54:55]
	v_pk_mul_f32 v[54:55], v[102:103], s[38:39] op_sel_hi:[0,1]
	v_pk_fma_f32 v[58:59], v[94:95], s[30:31], v[54:55] op_sel:[1,0,0] neg_lo:[0,0,1] neg_hi:[0,0,1]
	v_pk_fma_f32 v[38:39], v[80:81], s[10:11], v[38:39] op_sel:[1,0,0]
	v_pk_add_f32 v[48:49], v[48:49], v[58:59]
	v_pk_mul_f32 v[58:59], v[106:107], s[40:41] op_sel_hi:[0,1]
	v_pk_fma_f32 v[74:75], v[100:101], s[34:35], v[58:59] op_sel:[1,0,0] neg_lo:[0,0,1] neg_hi:[0,0,1]
	v_pk_add_f32 v[12:13], v[36:37], v[12:13] op_sel:[0,1]
	v_pk_add_f32 v[74:75], v[48:49], v[74:75]
	v_pk_fma_f32 v[48:49], v[86:87], s[28:29], v[50:51] op_sel_hi:[0,1,1]
	v_pk_add_f32 v[12:13], v[12:13], v[38:39]
	v_pk_fma_f32 v[36:37], v[94:95], s[30:31], v[54:55] op_sel:[1,0,0]
	v_pk_add_f32 v[12:13], v[12:13], v[48:49]
	v_add_f32_e32 v16, v0, v6
	v_pk_add_f32 v[12:13], v[12:13], v[36:37]
	v_pk_fma_f32 v[36:37], v[100:101], s[34:35], v[58:59] op_sel:[1,0,0]
	v_add_f32_e32 v6, v9, v63
	v_pk_add_f32 v[70:71], v[12:13], v[36:37]
	v_mov_b32_e32 v36, v109
	v_mov_b32_e32 v37, v116
	;; [unrolled: 1-line block ×3, first 2 shown]
	v_pk_mul_f32 v[38:39], v[36:37], s[50:51]
	v_pk_add_f32 v[12:13], v[0:1], v[34:35] neg_lo:[0,1] neg_hi:[0,1]
	v_add_f32_e32 v34, v6, v45
	v_mov_b32_e32 v45, v38
	v_add_f32_e32 v0, v38, v39
	v_pk_add_f32 v[38:39], v[64:65], v[66:67] neg_lo:[0,1] neg_hi:[0,1]
	v_pk_fma_f32 v[36:37], v[36:37], s[50:51], v[44:45] neg_lo:[1,0,0] neg_hi:[1,0,0]
	v_mov_b32_e32 v44, v112
	v_mov_b32_e32 v45, v39
	v_pk_mul_f32 v[48:49], v[44:45], s[48:49]
	v_mov_b32_e32 v104, v29
	v_mov_b32_e32 v51, v48
	v_add_f32_e32 v6, v48, v49
	v_mov_b32_e32 v48, v111
	v_mov_b32_e32 v49, v118
	v_pk_fma_f32 v[44:45], v[44:45], s[48:49], v[50:51] neg_lo:[1,0,0] neg_hi:[1,0,0]
	v_pk_mul_f32 v[50:51], v[48:49], s[24:25]
	v_mul_f32_e32 v31, 0xbf0a6770, v12
	v_mov_b32_e32 v55, v50
	v_pk_fma_f32 v[48:49], v[48:49], s[24:25], v[54:55] neg_lo:[1,0,0] neg_hi:[1,0,0]
	v_pk_add_f32 v[54:55], v[34:35], v[62:63]
	v_mov_b32_e32 v30, v41
	v_pk_add_f32 v[28:29], v[54:55], v[104:105]
	v_mov_b32_e32 v46, v47
	v_pk_add_f32 v[28:29], v[28:29], v[30:31]
	v_pk_fma_f32 v[30:31], v[54:55], v[104:105], v[30:31] neg_lo:[0,0,1] neg_hi:[0,0,1]
	v_mov_b32_e32 v47, v9
	v_mov_b32_e32 v29, v31
	;; [unrolled: 1-line block ×3, first 2 shown]
	v_pk_add_f32 v[28:29], v[28:29], v[46:47]
	v_mov_b32_e32 v30, v115
	v_mov_b32_e32 v31, v120
	v_pk_add_f32 v[28:29], v[36:37], v[28:29]
	v_pk_mul_f32 v[36:37], v[30:31], s[26:27]
	v_mov_b32_e32 v65, v45
	v_mul_f32_e32 v18, 0x3f575c64, v55
	v_mov_b32_e32 v41, v36
	v_mov_b32_e32 v48, v57
	v_fmac_f32_e32 v18, 0xbf0a6770, v12
	v_pk_add_f32 v[28:29], v[64:65], v[28:29]
	v_pk_fma_f32 v[30:31], v[30:31], s[26:27], v[40:41] neg_lo:[1,0,0] neg_hi:[1,0,0]
	v_add_f32_e32 v18, v18, v9
	v_pk_add_f32 v[28:29], v[48:49], v[28:29]
	v_mov_b32_e32 v30, v35
	v_add_f32_e32 v0, v18, v0
	v_pk_add_f32 v[62:63], v[30:31], v[28:29]
	v_pk_mul_f32 v[28:29], v[12:13], s[44:45] op_sel_hi:[0,1]
	v_add_f32_e32 v0, v0, v6
	v_add_f32_e32 v6, v50, v51
	v_pk_mul_f32 v[30:31], v[116:117], s[46:47] op_sel_hi:[0,1]
	v_pk_fma_f32 v[42:43], v[54:55], s[34:35], v[28:29] op_sel:[1,0,0] neg_lo:[0,0,1] neg_hi:[0,0,1]
	v_add_f32_e32 v0, v0, v6
	v_add_f32_e32 v6, v36, v37
	v_pk_fma_f32 v[34:35], v[108:109], s[12:13], v[30:31] op_sel:[1,0,0] neg_lo:[0,0,1] neg_hi:[0,0,1]
	v_pk_mul_f32 v[36:37], v[38:39], s[42:43] op_sel:[1,0]
	v_pk_add_f32 v[42:43], v[42:43], v[8:9] op_sel:[0,1]
	v_pk_fma_f32 v[40:41], v[112:113], s[30:31], v[36:37] op_sel_hi:[0,1,1] neg_lo:[0,0,1] neg_hi:[0,0,1]
	v_pk_add_f32 v[34:35], v[42:43], v[34:35]
	v_pk_fma_f32 v[28:29], v[54:55], s[34:35], v[28:29] op_sel:[1,0,0]
	v_pk_add_f32 v[34:35], v[34:35], v[40:41]
	v_pk_mul_f32 v[40:41], v[118:119], s[4:5] op_sel_hi:[0,1]
	v_pk_fma_f32 v[42:43], v[110:111], s[10:11], v[40:41] op_sel:[1,0,0] neg_lo:[0,0,1] neg_hi:[0,0,1]
	v_pk_fma_f32 v[30:31], v[108:109], s[12:13], v[30:31] op_sel:[1,0,0]
	v_pk_add_f32 v[34:35], v[34:35], v[42:43]
	v_pk_mul_f32 v[42:43], v[120:121], s[14:15] op_sel_hi:[0,1]
	v_pk_fma_f32 v[44:45], v[114:115], s[28:29], v[42:43] op_sel:[1,0,0] neg_lo:[0,0,1] neg_hi:[0,0,1]
	v_pk_add_f32 v[28:29], v[28:29], v[8:9] op_sel:[0,1]
	v_pk_add_f32 v[64:65], v[34:35], v[44:45]
	v_pk_fma_f32 v[34:35], v[112:113], s[30:31], v[36:37] op_sel_hi:[0,1,1]
	v_pk_add_f32 v[28:29], v[28:29], v[30:31]
	v_pk_fma_f32 v[30:31], v[110:111], s[10:11], v[40:41] op_sel:[1,0,0]
	v_pk_add_f32 v[28:29], v[28:29], v[34:35]
	v_pk_mul_f32 v[12:13], v[12:13], s[20:21] op_sel_hi:[0,1]
	v_pk_add_f32 v[28:29], v[28:29], v[30:31]
	v_pk_fma_f32 v[30:31], v[114:115], s[28:29], v[42:43] op_sel:[1,0,0]
	v_pk_mul_f32 v[34:35], v[38:39], s[36:37] op_sel:[1,0]
	v_pk_add_f32 v[66:67], v[28:29], v[30:31]
	v_pk_mul_f32 v[28:29], v[116:117], s[22:23] op_sel_hi:[0,1]
	v_pk_fma_f32 v[38:39], v[54:55], s[12:13], v[12:13] op_sel:[1,0,0] neg_lo:[0,0,1] neg_hi:[0,0,1]
	v_pk_fma_f32 v[30:31], v[108:109], s[10:11], v[28:29] op_sel:[1,0,0] neg_lo:[0,0,1] neg_hi:[0,0,1]
	v_pk_add_f32 v[38:39], v[38:39], v[8:9] op_sel:[0,1]
	v_pk_fma_f32 v[36:37], v[112:113], s[28:29], v[34:35] op_sel_hi:[0,1,1] neg_lo:[0,0,1] neg_hi:[0,0,1]
	v_pk_add_f32 v[30:31], v[38:39], v[30:31]
	v_pk_fma_f32 v[12:13], v[54:55], s[12:13], v[12:13] op_sel:[1,0,0]
	v_pk_add_f32 v[30:31], v[30:31], v[36:37]
	v_pk_mul_f32 v[36:37], v[118:119], s[38:39] op_sel_hi:[0,1]
	v_pk_fma_f32 v[38:39], v[110:111], s[30:31], v[36:37] op_sel:[1,0,0] neg_lo:[0,0,1] neg_hi:[0,0,1]
	v_pk_fma_f32 v[28:29], v[108:109], s[10:11], v[28:29] op_sel:[1,0,0]
	v_pk_add_f32 v[30:31], v[30:31], v[38:39]
	v_pk_mul_f32 v[38:39], v[120:121], s[40:41] op_sel_hi:[0,1]
	v_pk_fma_f32 v[40:41], v[114:115], s[34:35], v[38:39] op_sel:[1,0,0] neg_lo:[0,0,1] neg_hi:[0,0,1]
	v_pk_add_f32 v[8:9], v[12:13], v[8:9] op_sel:[0,1]
	v_pk_add_f32 v[80:81], v[30:31], v[40:41]
	v_pk_fma_f32 v[30:31], v[112:113], s[28:29], v[34:35] op_sel_hi:[0,1,1]
	v_pk_add_f32 v[8:9], v[8:9], v[28:29]
	s_movk_i32 s4, 0xffd8
	v_pk_add_f32 v[8:9], v[8:9], v[30:31]
	v_pk_fma_f32 v[12:13], v[110:111], s[30:31], v[36:37] op_sel:[1,0,0]
	v_mad_i32_i24 v56, v122, s4, v124
	v_add_f32_e32 v18, v0, v6
	v_pk_add_f32 v[8:9], v[8:9], v[12:13]
	v_pk_fma_f32 v[12:13], v[114:115], s[34:35], v[38:39] op_sel:[1,0,0]
	v_add_u32_e32 v20, 0x400, v56
	v_add_u32_e32 v58, 0x600, v56
	;; [unrolled: 1-line block ×4, first 2 shown]
	v_mad_i32_i24 v0, v123, s4, v60
	v_add_u32_e32 v57, 0x800, v56
	v_pk_add_f32 v[86:87], v[8:9], v[12:13]
	s_waitcnt lgkmcnt(0)
	; wave barrier
	s_waitcnt lgkmcnt(0)
	ds_read2_b32 v[8:9], v56 offset1:110
	ds_read2_b32 v[48:49], v20 offset0:19 offset1:74
	ds_read2_b32 v[30:31], v58 offset0:111 offset1:166
	;; [unrolled: 1-line block ×4, first 2 shown]
	ds_read_b32 v0, v0
	ds_read2_b32 v[44:45], v57 offset0:93 offset1:148
	ds_read2_b32 v[42:43], v22 offset0:131 offset1:186
	;; [unrolled: 1-line block ×5, first 2 shown]
	v_add_u32_e32 v55, 0xa00, v56
	v_add_u32_e32 v54, 0x1200, v56
	ds_read2_b32 v[36:37], v55 offset0:75 offset1:130
	ds_read2_b32 v[34:35], v54 offset0:113 offset1:168
	v_add_u32_e32 v50, 0x6e, v122
	v_mul_i32_i24_e32 v24, 0xffffffd8, v123
	s_waitcnt lgkmcnt(0)
	; wave barrier
	s_waitcnt lgkmcnt(0)
	ds_write2_b32 v124, v52, v53 offset1:1
	ds_write2_b32 v124, v72, v73 offset0:2 offset1:3
	ds_write2_b32 v124, v74, v75 offset0:4 offset1:5
	;; [unrolled: 1-line block ×4, first 2 shown]
	ds_write_b32 v124, v16 offset:40
	ds_write2_b32 v60, v62, v63 offset1:1
	ds_write2_b32 v60, v64, v65 offset0:2 offset1:3
	ds_write2_b32 v60, v80, v81 offset0:4 offset1:5
	;; [unrolled: 1-line block ×3, first 2 shown]
	v_mov_b32_e32 v6, v67
	ds_write2_b32 v60, v67, v66 offset0:8 offset1:9
	ds_write_b32 v60, v18 offset:40
	s_and_saveexec_b64 s[4:5], s[0:1]
	s_cbranch_execz .LBB0_19
; %bb.18:
	v_mov_b32_e32 v6, v1
	v_pk_add_f32 v[52:53], v[6:7], v[10:11]
	v_mov_b32_e32 v62, v83
	v_mov_b32_e32 v63, v98
	s_mov_b32 s1, 0xbf68dda4
	s_mov_b32 s0, 0x3ed4b147
	v_pk_add_f32 v[32:33], v[52:53], v[32:33]
	v_pk_mul_f32 v[64:65], v[62:63], s[0:1]
	v_pk_add_f32 v[26:27], v[10:11], v[26:27] neg_lo:[0,1] neg_hi:[0,1]
	v_mov_b32_e32 v1, v64
	v_add_f32_e32 v59, v64, v65
	v_mov_b32_e32 v64, v85
	v_mov_b32_e32 v65, v96
	s_mov_b32 s13, 0xbf7d64f0
	s_mov_b32 s12, 0xbe11bafb
	v_mov_b32_e32 v10, v33
	v_pk_mul_f32 v[66:67], v[64:65], s[12:13]
	v_pk_add_f32 v[10:11], v[10:11], v[14:15]
	v_mov_b32_e32 v33, 0x3f575c64
	v_mov_b32_e32 v32, v21
	v_mul_f32_e32 v53, 0xbf0a6770, v26
	v_pk_fma_f32 v[62:63], v[62:63], s[0:1], v[0:1] neg_lo:[1,0,0] neg_hi:[1,0,0]
	v_mov_b32_e32 v1, v66
	v_add_f32_e32 v61, v66, v67
	v_mov_b32_e32 v66, v77
	v_mov_b32_e32 v67, v92
	s_mov_b32 s19, 0xbf4178ce
	s_mov_b32 s18, 0xbf27a4f4
	v_pk_add_f32 v[70:71], v[10:11], v[32:33]
	v_mov_b32_e32 v52, v19
	v_pk_mul_f32 v[68:69], v[66:67], s[18:19]
	v_pk_mul_f32 v[72:73], v[10:11], v[32:33]
	v_pk_add_f32 v[18:19], v[70:71], v[52:53]
	v_pk_fma_f32 v[32:33], v[10:11], v[32:33], v[52:53] neg_lo:[0,0,1] neg_hi:[0,0,1]
	v_pk_fma_f32 v[64:65], v[64:65], s[12:13], v[0:1] neg_lo:[1,0,0] neg_hi:[1,0,0]
	v_mov_b32_e32 v1, v68
	v_mov_b32_e32 v19, v33
	v_fmac_f32_e32 v73, 0xbf0a6770, v26
	v_pk_fma_f32 v[66:67], v[66:67], s[18:19], v[0:1] neg_lo:[1,0,0] neg_hi:[1,0,0]
	v_pk_add_f32 v[18:19], v[18:19], v[6:7]
	v_mov_b32_e32 v62, v17
	v_add_f32_e32 v1, v7, v73
	v_pk_add_f32 v[16:17], v[62:63], v[18:19]
	v_add_f32_e32 v1, v1, v59
	v_mov_b32_e32 v18, v79
	v_mov_b32_e32 v19, v88
	s_mov_b32 s21, 0xbe903f40
	s_mov_b32 s20, 0xbf75a155
	v_add_f32_e32 v1, v1, v61
	v_add_f32_e32 v14, v68, v69
	v_pk_mul_f32 v[32:33], v[18:19], s[20:21]
	v_mov_b32_e32 v64, v25
	v_add_f32_e32 v21, v1, v14
	v_mov_b32_e32 v1, v32
	v_pk_add_f32 v[16:17], v[64:65], v[16:17]
	v_mov_b32_e32 v66, v23
	v_pk_fma_f32 v[18:19], v[18:19], s[20:21], v[0:1] neg_lo:[1,0,0] neg_hi:[1,0,0]
	v_pk_add_f32 v[16:17], v[66:67], v[16:17]
	v_mov_b32_e32 v18, v15
	s_mov_b32 s22, s1
	s_mov_b32 s23, s13
	v_pk_add_f32 v[14:15], v[18:19], v[16:17]
	v_pk_mul_f32 v[16:17], v[26:27], s[22:23] op_sel_hi:[0,1]
	s_mov_b32 s25, 0x3e903f40
	s_mov_b32 s24, s19
	;; [unrolled: 1-line block ×5, first 2 shown]
	v_pk_mul_f32 v[18:19], v[98:99], s[24:25] op_sel_hi:[0,1]
	s_mov_b32 s29, 0x3f68dda4
	s_mov_b32 s28, s25
	v_pk_fma_f32 v[64:65], v[10:11], s[0:1], v[16:17] op_sel:[1,0,0] neg_lo:[0,0,1] neg_hi:[0,0,1]
	s_mov_b32 s10, 0x3f7d64f0
	v_add_f32_e32 v1, v32, v33
	v_pk_fma_f32 v[32:33], v[82:83], s[22:23], v[18:19] op_sel:[1,0,0] neg_lo:[0,0,1] neg_hi:[0,0,1]
	s_mov_b32 s26, s20
	s_mov_b32 s27, s0
	v_pk_mul_f32 v[52:53], v[96:97], s[28:29] op_sel_hi:[0,1]
	v_pk_add_f32 v[64:65], v[6:7], v[64:65] op_sel:[1,0]
	s_mov_b32 s11, 0xbf0a6770
	v_pk_fma_f32 v[62:63], v[84:85], s[26:27], v[52:53] op_sel:[1,0,0] neg_lo:[0,0,1] neg_hi:[0,0,1]
	v_pk_add_f32 v[32:33], v[64:65], v[32:33]
	v_pk_fma_f32 v[16:17], v[10:11], s[0:1], v[16:17] op_sel:[1,0,0]
	s_mov_b32 s15, 0x3f575c64
	v_pk_add_f32 v[32:33], v[32:33], v[62:63]
	s_mov_b32 s14, s12
	v_pk_mul_f32 v[62:63], v[92:93], s[10:11] op_sel_hi:[0,1]
	v_pk_fma_f32 v[18:19], v[82:83], s[22:23], v[18:19] op_sel:[1,0,0]
	v_pk_add_f32 v[16:17], v[6:7], v[16:17] op_sel:[1,0]
	v_pk_fma_f32 v[64:65], v[76:77], s[14:15], v[62:63] op_sel:[1,0,0] neg_lo:[0,0,1] neg_hi:[0,0,1]
	s_mov_b32 s25, s18
	s_mov_b32 s18, 0x3f0a6770
	v_pk_fma_f32 v[52:53], v[84:85], s[26:27], v[52:53] op_sel:[1,0,0]
	v_pk_add_f32 v[16:17], v[16:17], v[18:19]
	v_pk_add_f32 v[32:33], v[32:33], v[64:65]
	s_mov_b32 s24, s15
	v_pk_mul_f32 v[64:65], v[88:89], s[18:19] op_sel_hi:[0,1]
	v_pk_add_f32 v[16:17], v[16:17], v[52:53]
	v_pk_fma_f32 v[18:19], v[76:77], s[14:15], v[62:63] op_sel:[1,0,0]
	s_mov_b32 s20, s19
	v_pk_add_f32 v[16:17], v[16:17], v[18:19]
	v_pk_fma_f32 v[18:19], v[78:79], s[24:25], v[64:65] op_sel:[1,0,0]
	v_pk_fma_f32 v[66:67], v[78:79], s[24:25], v[64:65] op_sel:[1,0,0] neg_lo:[0,0,1] neg_hi:[0,0,1]
	v_pk_add_f32 v[16:17], v[16:17], v[18:19]
	v_pk_mul_f32 v[18:19], v[26:27], s[20:21] op_sel_hi:[0,1]
	s_mov_b32 s30, s10
	s_mov_b32 s31, s18
	v_pk_add_f32 v[32:33], v[32:33], v[66:67]
	v_pk_mul_f32 v[26:27], v[98:99], s[30:31] op_sel_hi:[0,1]
	s_mov_b32 s18, s11
	v_pk_fma_f32 v[66:67], v[10:11], s[22:23], v[18:19] op_sel:[1,0,0] neg_lo:[0,0,1] neg_hi:[0,0,1]
	v_pk_fma_f32 v[52:53], v[82:83], s[14:15], v[26:27] op_sel:[1,0,0] neg_lo:[0,0,1] neg_hi:[0,0,1]
	v_pk_mul_f32 v[62:63], v[96:97], s[18:19] op_sel_hi:[0,1]
	v_pk_add_f32 v[66:67], v[6:7], v[66:67] op_sel:[1,0]
	v_pk_fma_f32 v[64:65], v[84:85], s[24:25], v[62:63] op_sel:[1,0,0] neg_lo:[0,0,1] neg_hi:[0,0,1]
	v_pk_add_f32 v[52:53], v[66:67], v[52:53]
	s_mov_b32 s28, s21
	v_pk_fma_f32 v[10:11], v[10:11], s[22:23], v[18:19] op_sel:[1,0,0]
	v_pk_add_f32 v[52:53], v[52:53], v[64:65]
	v_pk_mul_f32 v[64:65], v[92:93], s[28:29] op_sel_hi:[0,1]
	v_pk_fma_f32 v[26:27], v[82:83], s[14:15], v[26:27] op_sel:[1,0,0]
	v_pk_add_f32 v[6:7], v[6:7], v[10:11] op_sel:[1,0]
	v_pk_fma_f32 v[66:67], v[76:77], s[26:27], v[64:65] op_sel:[1,0,0] neg_lo:[0,0,1] neg_hi:[0,0,1]
	s_mov_b32 s12, s29
	v_pk_fma_f32 v[62:63], v[84:85], s[24:25], v[62:63] op_sel:[1,0,0]
	v_pk_add_f32 v[6:7], v[6:7], v[26:27]
	v_pk_add_f32 v[52:53], v[52:53], v[66:67]
	v_pk_mul_f32 v[66:67], v[88:89], s[12:13] op_sel_hi:[0,1]
	v_pk_add_f32 v[6:7], v[6:7], v[62:63]
	v_pk_fma_f32 v[10:11], v[76:77], s[26:27], v[64:65] op_sel:[1,0,0]
	v_pk_fma_f32 v[68:69], v[78:79], s[0:1], v[66:67] op_sel:[1,0,0] neg_lo:[0,0,1] neg_hi:[0,0,1]
	v_pk_add_f32 v[6:7], v[6:7], v[10:11]
	v_pk_fma_f32 v[10:11], v[78:79], s[0:1], v[66:67] op_sel:[1,0,0]
	v_add_f32_e32 v21, v21, v1
	v_pk_add_f32 v[6:7], v[6:7], v[10:11]
	v_mad_u32_u24 v11, v50, 44, 0
	v_pk_add_f32 v[52:53], v[52:53], v[68:69]
	ds_write2_b32 v11, v14, v15 offset1:1
	ds_write2_b32 v11, v32, v33 offset0:2 offset1:3
	ds_write2_b32 v11, v52, v53 offset0:4 offset1:5
	ds_write2_b32 v11, v7, v6 offset0:6 offset1:7
	ds_write2_b32 v11, v17, v16 offset0:8 offset1:9
	ds_write_b32 v11, v21 offset:40
.LBB0_19:
	s_or_b64 exec, exec, s[4:5]
	s_movk_i32 s0, 0x75
	v_mul_lo_u16_sdwa v1, v122, s0 dst_sel:DWORD dst_unused:UNUSED_PAD src0_sel:BYTE_0 src1_sel:DWORD
	v_sub_u16_sdwa v6, v122, v1 dst_sel:DWORD dst_unused:UNUSED_PAD src0_sel:DWORD src1_sel:BYTE_1
	v_lshrrev_b16_e32 v6, 1, v6
	v_and_b32_e32 v6, 0x7f, v6
	v_add_u16_sdwa v1, v6, v1 dst_sel:DWORD dst_unused:UNUSED_PAD src0_sel:DWORD src1_sel:BYTE_1
	v_lshrrev_b16_e32 v1, 3, v1
	v_mul_lo_u16_e32 v6, 11, v1
	v_sub_u16_e32 v19, v122, v6
	v_mov_b32_e32 v10, 5
	v_lshlrev_b32_sdwa v6, v10, v19 dst_sel:DWORD dst_unused:UNUSED_PAD src0_sel:DWORD src1_sel:BYTE_0
	s_waitcnt lgkmcnt(0)
	; wave barrier
	s_waitcnt lgkmcnt(0)
	global_load_dwordx4 v[62:65], v6, s[8:9] offset:16
	global_load_dwordx4 v[66:69], v6, s[8:9]
	v_mul_lo_u16_sdwa v6, v123, s0 dst_sel:DWORD dst_unused:UNUSED_PAD src0_sel:BYTE_0 src1_sel:DWORD
	v_sub_u16_sdwa v7, v123, v6 dst_sel:DWORD dst_unused:UNUSED_PAD src0_sel:DWORD src1_sel:BYTE_1
	v_lshrrev_b16_e32 v7, 1, v7
	v_and_b32_e32 v7, 0x7f, v7
	v_add_u16_sdwa v6, v7, v6 dst_sel:DWORD dst_unused:UNUSED_PAD src0_sel:DWORD src1_sel:BYTE_1
	v_lshrrev_b16_e32 v6, 3, v6
	v_mul_lo_u16_e32 v7, 11, v6
	v_sub_u16_e32 v21, v123, v7
	v_lshlrev_b32_sdwa v7, v10, v21 dst_sel:DWORD dst_unused:UNUSED_PAD src0_sel:DWORD src1_sel:BYTE_0
	global_load_dwordx4 v[70:73], v7, s[8:9]
	global_load_dwordx4 v[74:77], v7, s[8:9] offset:16
	v_mul_lo_u16_sdwa v7, v50, s0 dst_sel:DWORD dst_unused:UNUSED_PAD src0_sel:BYTE_0 src1_sel:DWORD
	v_sub_u16_sdwa v11, v50, v7 dst_sel:DWORD dst_unused:UNUSED_PAD src0_sel:DWORD src1_sel:BYTE_1
	v_lshrrev_b16_e32 v11, 1, v11
	v_and_b32_e32 v11, 0x7f, v11
	v_add_u16_sdwa v7, v11, v7 dst_sel:DWORD dst_unused:UNUSED_PAD src0_sel:DWORD src1_sel:BYTE_1
	v_lshrrev_b16_e32 v7, 3, v7
	v_mul_lo_u16_e32 v11, 11, v7
	v_sub_u16_e32 v23, v50, v11
	v_lshlrev_b32_sdwa v11, v10, v23 dst_sel:DWORD dst_unused:UNUSED_PAD src0_sel:DWORD src1_sel:BYTE_0
	v_add_u32_e32 v59, 0xa5, v122
	global_load_dwordx4 v[78:81], v11, s[8:9]
	global_load_dwordx4 v[82:85], v11, s[8:9] offset:16
	v_mul_lo_u16_sdwa v11, v59, s0 dst_sel:DWORD dst_unused:UNUSED_PAD src0_sel:BYTE_0 src1_sel:DWORD
	v_sub_u16_sdwa v14, v59, v11 dst_sel:DWORD dst_unused:UNUSED_PAD src0_sel:DWORD src1_sel:BYTE_1
	v_lshrrev_b16_e32 v14, 1, v14
	v_and_b32_e32 v14, 0x7f, v14
	v_add_u16_sdwa v11, v14, v11 dst_sel:DWORD dst_unused:UNUSED_PAD src0_sel:DWORD src1_sel:BYTE_1
	v_lshrrev_b16_e32 v16, 3, v11
	v_mul_lo_u16_e32 v11, 11, v16
	v_sub_u16_e32 v33, v59, v11
	v_lshlrev_b32_sdwa v10, v10, v33 dst_sel:DWORD dst_unused:UNUSED_PAD src0_sel:DWORD src1_sel:BYTE_0
	global_load_dwordx4 v[86:89], v10, s[8:9]
	global_load_dwordx4 v[90:93], v10, s[8:9] offset:16
	v_add_u32_e32 v32, 0xdc, v122
	s_mov_b32 s0, 0xba2f
	v_mul_u32_u24_sdwa v14, v32, s0 dst_sel:DWORD dst_unused:UNUSED_PAD src0_sel:WORD_0 src1_sel:DWORD
	v_lshrrev_b32_e32 v18, 19, v14
	v_mul_lo_u16_e32 v14, 11, v18
	v_sub_u16_e32 v61, v32, v14
	v_lshlrev_b32_e32 v14, 5, v61
	ds_read2_b32 v[10:11], v56 offset1:110
	ds_read2_b32 v[26:27], v20 offset0:19 offset1:74
	ds_read2_b32 v[52:53], v58 offset0:111 offset1:166
	;; [unrolled: 1-line block ×4, first 2 shown]
	global_load_dwordx4 v[94:97], v14, s[8:9] offset:16
	global_load_dwordx4 v[98:101], v14, s[8:9]
	v_add_u32_e32 v60, v60, v24
	ds_read2_b32 v[24:25], v57 offset0:93 offset1:148
	ds_read2_b32 v[106:107], v22 offset0:131 offset1:186
	ds_read2_b32 v[108:109], v20 offset0:129 offset1:184
	ds_read2_b32 v[110:111], v51 offset0:167 offset1:222
	ds_read2_b32 v[14:15], v56 offset0:165 offset1:220
	ds_read2_b32 v[112:113], v55 offset0:75 offset1:130
	ds_read2_b32 v[114:115], v54 offset0:113 offset1:168
	ds_read_b32 v17, v60
	v_mov_b32_e32 v116, 2
	v_lshlrev_b32_sdwa v19, v116, v19 dst_sel:DWORD dst_unused:UNUSED_PAD src0_sel:DWORD src1_sel:BYTE_0
	v_mul_u32_u24_e32 v1, 0xdc, v1
	v_lshlrev_b32_sdwa v21, v116, v21 dst_sel:DWORD dst_unused:UNUSED_PAD src0_sel:DWORD src1_sel:BYTE_0
	v_add3_u32 v19, 0, v1, v19
	v_mul_u32_u24_e32 v1, 0xdc, v6
	v_add3_u32 v21, 0, v1, v21
	v_lshlrev_b32_sdwa v23, v116, v23 dst_sel:DWORD dst_unused:UNUSED_PAD src0_sel:DWORD src1_sel:BYTE_0
	s_waitcnt lgkmcnt(0)
	; wave barrier
	s_waitcnt lgkmcnt(0)
	v_lshlrev_b32_sdwa v33, v116, v33 dst_sel:DWORD dst_unused:UNUSED_PAD src0_sel:DWORD src1_sel:BYTE_0
	v_lshlrev_b32_e32 v61, 2, v61
	s_movk_i32 s0, 0x95
	s_movk_i32 s1, 0x29e5
	s_mov_b32 s10, 0x3f737871
	s_mov_b32 s4, 0x3f167918
	s_waitcnt vmcnt(9)
	v_mul_f32_e32 v119, v102, v63
	s_waitcnt vmcnt(8)
	v_mul_f32_e32 v117, v26, v67
	v_mul_f32_e32 v67, v48, v67
	v_fmac_f32_e32 v117, v48, v66
	v_mul_f32_e32 v118, v53, v69
	v_mul_f32_e32 v120, v105, v65
	;; [unrolled: 1-line block ×3, first 2 shown]
	v_fmac_f32_e32 v118, v31, v68
	v_fmac_f32_e32 v119, v46, v62
	v_mul_f32_e32 v69, v31, v69
	s_waitcnt vmcnt(7)
	v_mul_f32_e32 v48, v49, v71
	v_mul_f32_e32 v121, v27, v71
	v_fma_f32 v27, v27, v70, -v48
	v_mul_f32_e32 v48, v24, v73
	v_fmac_f32_e32 v48, v44, v72
	v_mul_f32_e32 v44, v44, v73
	v_mul_f32_e32 v63, v46, v63
	v_fma_f32 v26, v26, v66, -v67
	v_fmac_f32_e32 v120, v29, v64
	v_fma_f32 v29, v105, v64, -v65
	v_fmac_f32_e32 v121, v49, v70
	v_fma_f32 v24, v24, v72, -v44
	s_waitcnt vmcnt(6)
	v_mul_f32_e32 v44, v103, v75
	v_mul_f32_e32 v49, v106, v77
	v_add_f32_e32 v72, v118, v119
	v_fma_f32 v31, v53, v68, -v69
	v_fma_f32 v46, v102, v62, -v63
	v_fmac_f32_e32 v44, v47, v74
	v_mul_f32_e32 v47, v47, v75
	v_fmac_f32_e32 v49, v42, v76
	v_mul_f32_e32 v42, v42, v77
	v_fma_f32 v72, -0.5, v72, v8
	v_sub_f32_e32 v73, v26, v29
	v_fma_f32 v47, v103, v74, -v47
	v_fma_f32 v42, v106, v76, -v42
	v_fmamk_f32 v74, v73, 0xbf737871, v72
	v_sub_f32_e32 v75, v31, v46
	v_sub_f32_e32 v76, v117, v118
	;; [unrolled: 1-line block ×3, first 2 shown]
	v_fmac_f32_e32 v72, 0x3f737871, v73
	v_fmac_f32_e32 v74, 0xbf167918, v75
	v_add_f32_e32 v76, v76, v77
	v_fmac_f32_e32 v72, 0x3f167918, v75
	s_waitcnt vmcnt(5)
	v_mul_f32_e32 v53, v108, v79
	v_fmac_f32_e32 v74, 0x3e9e377a, v76
	v_fmac_f32_e32 v72, 0x3e9e377a, v76
	v_add_f32_e32 v76, v117, v120
	v_fmac_f32_e32 v53, v40, v78
	v_mul_f32_e32 v40, v40, v79
	s_waitcnt vmcnt(3)
	v_mul_f32_e32 v65, v112, v89
	v_add_f32_e32 v71, v8, v117
	v_fma_f32 v8, -0.5, v76, v8
	v_fma_f32 v40, v108, v78, -v40
	v_fmac_f32_e32 v65, v36, v88
	v_mul_f32_e32 v36, v36, v89
	v_fmamk_f32 v76, v75, 0x3f737871, v8
	v_sub_f32_e32 v77, v118, v117
	v_sub_f32_e32 v78, v119, v120
	v_fmac_f32_e32 v8, 0xbf737871, v75
	v_add_f32_e32 v75, v31, v46
	v_fma_f32 v36, v112, v88, -v36
	v_fmac_f32_e32 v76, 0xbf167918, v73
	v_add_f32_e32 v77, v77, v78
	v_fmac_f32_e32 v8, 0x3f167918, v73
	v_fma_f32 v88, -0.5, v75, v10
	v_sub_f32_e32 v75, v117, v120
	v_fmac_f32_e32 v76, 0x3e9e377a, v77
	v_fmac_f32_e32 v8, 0x3e9e377a, v77
	v_fmamk_f32 v89, v75, 0x3f737871, v88
	v_sub_f32_e32 v77, v118, v119
	v_sub_f32_e32 v78, v26, v31
	;; [unrolled: 1-line block ×3, first 2 shown]
	v_fmac_f32_e32 v88, 0xbf737871, v75
	s_waitcnt vmcnt(2)
	v_mul_f32_e32 v66, v111, v91
	v_fmac_f32_e32 v89, 0x3f167918, v77
	v_add_f32_e32 v78, v78, v79
	v_fmac_f32_e32 v88, 0xbf167918, v77
	v_fmac_f32_e32 v66, v39, v90
	v_mul_f32_e32 v39, v39, v91
	v_add_f32_e32 v73, v10, v26
	v_fmac_f32_e32 v89, 0x3e9e377a, v78
	v_fmac_f32_e32 v88, 0x3e9e377a, v78
	v_add_f32_e32 v78, v26, v29
	v_fma_f32 v39, v111, v90, -v39
	v_add_f32_e32 v73, v73, v31
	v_fma_f32 v90, -0.5, v78, v10
	v_sub_f32_e32 v10, v31, v26
	v_sub_f32_e32 v26, v46, v29
	v_add_f32_e32 v73, v73, v46
	v_add_f32_e32 v10, v10, v26
	;; [unrolled: 1-line block ×4, first 2 shown]
	v_fmamk_f32 v91, v77, 0xbf737871, v90
	v_fmac_f32_e32 v90, 0x3f737871, v77
	v_fma_f32 v26, -0.5, v26, v0
	v_sub_f32_e32 v29, v27, v42
	v_fmac_f32_e32 v91, 0x3f167918, v75
	v_fmac_f32_e32 v90, 0xbf167918, v75
	v_fmamk_f32 v31, v29, 0xbf737871, v26
	v_sub_f32_e32 v46, v24, v47
	v_sub_f32_e32 v75, v121, v48
	;; [unrolled: 1-line block ×3, first 2 shown]
	v_fmac_f32_e32 v26, 0x3f737871, v29
	v_fmac_f32_e32 v31, 0xbf167918, v46
	v_add_f32_e32 v75, v75, v77
	v_fmac_f32_e32 v26, 0x3f167918, v46
	v_fmac_f32_e32 v91, 0x3e9e377a, v10
	;; [unrolled: 1-line block ×3, first 2 shown]
	v_add_f32_e32 v10, v0, v121
	v_fmac_f32_e32 v31, 0x3e9e377a, v75
	v_fmac_f32_e32 v26, 0x3e9e377a, v75
	v_add_f32_e32 v75, v121, v49
	v_add_f32_e32 v10, v10, v48
	v_fmac_f32_e32 v0, -0.5, v75
	v_mul_f32_e32 v67, v114, v93
	v_add_f32_e32 v10, v10, v44
	v_fmamk_f32 v75, v46, 0x3f737871, v0
	v_sub_f32_e32 v77, v48, v121
	v_sub_f32_e32 v78, v44, v49
	v_fmac_f32_e32 v0, 0xbf737871, v46
	v_add_f32_e32 v46, v24, v47
	v_mul_f32_e32 v62, v25, v81
	v_fmac_f32_e32 v67, v34, v92
	v_mul_f32_e32 v34, v34, v93
	v_add_f32_e32 v10, v10, v49
	v_fmac_f32_e32 v75, 0xbf167918, v29
	v_add_f32_e32 v77, v77, v78
	v_fmac_f32_e32 v0, 0x3f167918, v29
	v_fma_f32 v46, -0.5, v46, v17
	v_sub_f32_e32 v49, v121, v49
	v_fmac_f32_e32 v62, v45, v80
	v_mul_f32_e32 v45, v45, v81
	v_fma_f32 v34, v114, v92, -v34
	v_fmac_f32_e32 v75, 0x3e9e377a, v77
	v_fmac_f32_e32 v0, 0x3e9e377a, v77
	v_fmamk_f32 v92, v49, 0x3f737871, v46
	v_sub_f32_e32 v44, v48, v44
	v_sub_f32_e32 v48, v27, v24
	;; [unrolled: 1-line block ×3, first 2 shown]
	v_fmac_f32_e32 v46, 0xbf737871, v49
	v_fma_f32 v25, v25, v80, -v45
	v_mul_f32_e32 v45, v110, v83
	v_mul_f32_e32 v63, v107, v85
	v_add_f32_e32 v29, v17, v27
	v_fmac_f32_e32 v92, 0x3f167918, v44
	v_add_f32_e32 v48, v48, v77
	v_fmac_f32_e32 v46, 0xbf167918, v44
	v_fmac_f32_e32 v45, v38, v82
	;; [unrolled: 1-line block ×3, first 2 shown]
	v_mul_f32_e32 v43, v43, v85
	v_add_f32_e32 v29, v29, v24
	v_fmac_f32_e32 v92, 0x3e9e377a, v48
	v_fmac_f32_e32 v46, 0x3e9e377a, v48
	v_add_f32_e32 v48, v27, v42
	v_sub_f32_e32 v24, v24, v27
	v_sub_f32_e32 v27, v47, v42
	v_mul_f32_e32 v38, v38, v83
	v_fma_f32 v43, v107, v84, -v43
	v_add_f32_e32 v29, v29, v47
	v_fmac_f32_e32 v17, -0.5, v48
	v_add_f32_e32 v24, v24, v27
	v_add_f32_e32 v27, v62, v45
	v_fma_f32 v38, v110, v82, -v38
	v_add_f32_e32 v29, v29, v42
	v_fmamk_f32 v48, v44, 0xbf737871, v17
	v_fmac_f32_e32 v17, 0x3f737871, v44
	v_fma_f32 v27, -0.5, v27, v9
	v_sub_f32_e32 v42, v40, v43
	v_fmac_f32_e32 v48, 0x3f167918, v49
	v_fmac_f32_e32 v17, 0xbf167918, v49
	v_fmamk_f32 v44, v42, 0xbf737871, v27
	v_sub_f32_e32 v47, v25, v38
	v_sub_f32_e32 v49, v53, v62
	;; [unrolled: 1-line block ×3, first 2 shown]
	v_fmac_f32_e32 v27, 0x3f737871, v42
	v_fmac_f32_e32 v44, 0xbf167918, v47
	v_add_f32_e32 v49, v49, v77
	v_fmac_f32_e32 v27, 0x3f167918, v47
	v_fmac_f32_e32 v44, 0x3e9e377a, v49
	;; [unrolled: 1-line block ×3, first 2 shown]
	v_add_f32_e32 v49, v53, v63
	v_fmac_f32_e32 v48, 0x3e9e377a, v24
	v_fmac_f32_e32 v17, 0x3e9e377a, v24
	v_add_f32_e32 v24, v9, v53
	v_fmac_f32_e32 v9, -0.5, v49
	v_add_f32_e32 v24, v24, v62
	v_fmamk_f32 v49, v47, 0x3f737871, v9
	v_sub_f32_e32 v77, v62, v53
	v_sub_f32_e32 v78, v45, v63
	v_fmac_f32_e32 v9, 0xbf737871, v47
	v_add_f32_e32 v47, v25, v38
	v_add_f32_e32 v24, v24, v45
	v_fmac_f32_e32 v49, 0xbf167918, v42
	v_add_f32_e32 v77, v77, v78
	v_fmac_f32_e32 v9, 0x3f167918, v42
	v_fma_f32 v47, -0.5, v47, v11
	v_sub_f32_e32 v53, v53, v63
	v_add_f32_e32 v24, v24, v63
	v_fmac_f32_e32 v49, 0x3e9e377a, v77
	v_fmac_f32_e32 v9, 0x3e9e377a, v77
	v_add_f32_e32 v42, v11, v40
	v_fmamk_f32 v63, v53, 0x3f737871, v47
	v_sub_f32_e32 v45, v62, v45
	v_sub_f32_e32 v62, v40, v25
	;; [unrolled: 1-line block ×3, first 2 shown]
	v_fmac_f32_e32 v47, 0xbf737871, v53
	v_mul_f32_e32 v64, v109, v87
	v_add_f32_e32 v42, v42, v25
	v_fmac_f32_e32 v63, 0x3f167918, v45
	v_add_f32_e32 v62, v62, v77
	v_fmac_f32_e32 v47, 0xbf167918, v45
	v_fmac_f32_e32 v64, v41, v86
	v_mul_f32_e32 v41, v41, v87
	v_add_f32_e32 v42, v42, v38
	v_fmac_f32_e32 v63, 0x3e9e377a, v62
	v_fmac_f32_e32 v47, 0x3e9e377a, v62
	v_add_f32_e32 v62, v40, v43
	v_sub_f32_e32 v25, v25, v40
	v_sub_f32_e32 v38, v38, v43
	v_fma_f32 v41, v109, v86, -v41
	v_fmac_f32_e32 v11, -0.5, v62
	v_add_f32_e32 v25, v25, v38
	v_add_f32_e32 v38, v65, v66
	v_fmamk_f32 v62, v45, 0xbf737871, v11
	v_fmac_f32_e32 v11, 0x3f737871, v45
	v_fma_f32 v38, -0.5, v38, v12
	v_sub_f32_e32 v40, v41, v34
	v_add_f32_e32 v42, v42, v43
	v_fmac_f32_e32 v62, 0x3f167918, v53
	v_fmac_f32_e32 v11, 0xbf167918, v53
	v_fmamk_f32 v43, v40, 0xbf737871, v38
	v_sub_f32_e32 v45, v36, v39
	v_sub_f32_e32 v53, v64, v65
	;; [unrolled: 1-line block ×3, first 2 shown]
	v_fmac_f32_e32 v38, 0x3f737871, v40
	v_fmac_f32_e32 v43, 0xbf167918, v45
	v_add_f32_e32 v53, v53, v77
	v_fmac_f32_e32 v38, 0x3f167918, v45
	v_fmac_f32_e32 v43, 0x3e9e377a, v53
	v_fmac_f32_e32 v38, 0x3e9e377a, v53
	v_add_f32_e32 v53, v64, v67
	v_fmac_f32_e32 v62, 0x3e9e377a, v25
	v_fmac_f32_e32 v11, 0x3e9e377a, v25
	v_add_f32_e32 v25, v12, v64
	v_fma_f32 v12, -0.5, v53, v12
	v_add_f32_e32 v25, v25, v65
	v_fmamk_f32 v53, v45, 0x3f737871, v12
	v_sub_f32_e32 v77, v65, v64
	v_sub_f32_e32 v78, v66, v67
	v_fmac_f32_e32 v12, 0xbf737871, v45
	v_add_f32_e32 v45, v36, v39
	s_waitcnt vmcnt(0)
	v_mul_f32_e32 v68, v52, v99
	v_add_f32_e32 v25, v25, v66
	v_fmac_f32_e32 v53, 0xbf167918, v40
	v_add_f32_e32 v77, v77, v78
	v_fmac_f32_e32 v12, 0x3f167918, v40
	v_add_f32_e32 v40, v14, v41
	v_fma_f32 v45, -0.5, v45, v14
	v_sub_f32_e32 v64, v64, v67
	v_fmac_f32_e32 v68, v30, v98
	v_mul_f32_e32 v30, v30, v99
	v_add_f32_e32 v25, v25, v67
	v_fmac_f32_e32 v53, 0x3e9e377a, v77
	v_fmac_f32_e32 v12, 0x3e9e377a, v77
	v_add_f32_e32 v40, v40, v36
	v_fmamk_f32 v67, v64, 0x3f737871, v45
	v_sub_f32_e32 v65, v65, v66
	v_sub_f32_e32 v66, v41, v36
	;; [unrolled: 1-line block ×3, first 2 shown]
	v_fmac_f32_e32 v45, 0xbf737871, v64
	v_fma_f32 v30, v52, v98, -v30
	v_mul_f32_e32 v52, v113, v101
	v_mul_f32_e32 v69, v104, v95
	;; [unrolled: 1-line block ×3, first 2 shown]
	v_add_f32_e32 v40, v40, v39
	v_fmac_f32_e32 v67, 0x3f167918, v65
	v_add_f32_e32 v66, v66, v77
	v_fmac_f32_e32 v45, 0xbf167918, v65
	v_fmac_f32_e32 v52, v37, v100
	;; [unrolled: 1-line block ×4, first 2 shown]
	v_mul_f32_e32 v35, v35, v97
	v_add_f32_e32 v40, v40, v34
	v_fmac_f32_e32 v67, 0x3e9e377a, v66
	v_fmac_f32_e32 v45, 0x3e9e377a, v66
	v_add_f32_e32 v66, v41, v34
	v_sub_f32_e32 v36, v36, v41
	v_sub_f32_e32 v34, v39, v34
	v_mul_f32_e32 v37, v37, v101
	v_mul_f32_e32 v28, v28, v95
	v_fma_f32 v35, v115, v96, -v35
	v_fma_f32 v14, -0.5, v66, v14
	v_add_f32_e32 v34, v36, v34
	v_add_f32_e32 v36, v52, v69
	v_fma_f32 v37, v113, v100, -v37
	v_fma_f32 v28, v104, v94, -v28
	v_fmamk_f32 v66, v65, 0xbf737871, v14
	v_fmac_f32_e32 v14, 0x3f737871, v65
	v_fma_f32 v36, -0.5, v36, v13
	v_sub_f32_e32 v39, v30, v35
	v_fmac_f32_e32 v66, 0x3f167918, v64
	v_fmac_f32_e32 v14, 0xbf167918, v64
	v_fmamk_f32 v41, v39, 0xbf737871, v36
	v_sub_f32_e32 v64, v37, v28
	v_sub_f32_e32 v65, v68, v52
	;; [unrolled: 1-line block ×3, first 2 shown]
	v_fmac_f32_e32 v36, 0x3f737871, v39
	v_fmac_f32_e32 v41, 0xbf167918, v64
	v_add_f32_e32 v65, v65, v77
	v_fmac_f32_e32 v36, 0x3f167918, v64
	v_fmac_f32_e32 v41, 0x3e9e377a, v65
	;; [unrolled: 1-line block ×3, first 2 shown]
	v_add_f32_e32 v65, v68, v70
	v_fmac_f32_e32 v66, 0x3e9e377a, v34
	v_fmac_f32_e32 v14, 0x3e9e377a, v34
	v_add_f32_e32 v34, v13, v68
	v_fmac_f32_e32 v13, -0.5, v65
	v_add_f32_e32 v34, v34, v52
	v_fmamk_f32 v65, v64, 0x3f737871, v13
	v_sub_f32_e32 v77, v52, v68
	v_sub_f32_e32 v78, v69, v70
	v_fmac_f32_e32 v13, 0xbf737871, v64
	v_add_f32_e32 v64, v37, v28
	v_add_f32_e32 v71, v71, v118
	;; [unrolled: 1-line block ×3, first 2 shown]
	v_fmac_f32_e32 v65, 0xbf167918, v39
	v_add_f32_e32 v77, v77, v78
	v_fmac_f32_e32 v13, 0x3f167918, v39
	v_fma_f32 v64, -0.5, v64, v15
	v_sub_f32_e32 v68, v68, v70
	v_add_f32_e32 v71, v71, v119
	v_add_f32_e32 v34, v34, v70
	v_fmac_f32_e32 v65, 0x3e9e377a, v77
	v_fmac_f32_e32 v13, 0x3e9e377a, v77
	v_fmamk_f32 v70, v68, 0x3f737871, v64
	v_sub_f32_e32 v52, v52, v69
	v_sub_f32_e32 v69, v30, v37
	;; [unrolled: 1-line block ×3, first 2 shown]
	v_fmac_f32_e32 v64, 0xbf737871, v68
	v_add_f32_e32 v71, v71, v120
	v_fmac_f32_e32 v70, 0x3f167918, v52
	v_add_f32_e32 v69, v69, v77
	;; [unrolled: 2-line block ×3, first 2 shown]
	v_fmac_f32_e32 v70, 0x3e9e377a, v69
	v_fmac_f32_e32 v64, 0x3e9e377a, v69
	v_add_f32_e32 v69, v30, v35
	ds_write2_b32 v19, v71, v74 offset1:11
	ds_write2_b32 v19, v76, v8 offset0:22 offset1:33
	ds_write_b32 v19, v72 offset:176
	ds_write2_b32 v21, v10, v31 offset1:11
	ds_write2_b32 v21, v75, v0 offset0:22 offset1:33
	ds_write_b32 v21, v26 offset:176
	v_mul_u32_u24_e32 v0, 0xdc, v7
	v_add_f32_e32 v39, v39, v37
	v_fmac_f32_e32 v15, -0.5, v69
	v_add3_u32 v23, 0, v0, v23
	v_mul_u32_u24_e32 v0, 0xdc, v16
	v_add_f32_e32 v39, v39, v28
	v_fmamk_f32 v69, v52, 0xbf737871, v15
	v_sub_f32_e32 v30, v37, v30
	v_sub_f32_e32 v28, v28, v35
	v_fmac_f32_e32 v15, 0x3f737871, v52
	v_add3_u32 v16, 0, v0, v33
	v_mul_u32_u24_e32 v0, 0xdc, v18
	v_fmac_f32_e32 v69, 0x3f167918, v68
	v_add_f32_e32 v28, v30, v28
	v_fmac_f32_e32 v15, 0xbf167918, v68
	ds_write2_b32 v23, v24, v44 offset1:11
	ds_write2_b32 v23, v49, v9 offset0:22 offset1:33
	ds_write_b32 v23, v27 offset:176
	ds_write2_b32 v16, v25, v43 offset1:11
	ds_write2_b32 v16, v53, v12 offset0:22 offset1:33
	ds_write_b32 v16, v38 offset:176
	v_add3_u32 v12, 0, v0, v61
	v_add_f32_e32 v39, v39, v35
	v_fmac_f32_e32 v69, 0x3e9e377a, v28
	v_fmac_f32_e32 v15, 0x3e9e377a, v28
	ds_write2_b32 v12, v34, v41 offset1:11
	ds_write2_b32 v12, v65, v13 offset0:22 offset1:33
	ds_write_b32 v12, v36 offset:176
	s_waitcnt lgkmcnt(0)
	; wave barrier
	s_waitcnt lgkmcnt(0)
	ds_read2_b32 v[0:1], v56 offset1:110
	ds_read2_b32 v[30:31], v20 offset0:19 offset1:74
	ds_read2_b32 v[52:53], v58 offset0:111 offset1:166
	;; [unrolled: 1-line block ×4, first 2 shown]
	ds_read_b32 v10, v60
	ds_read2_b32 v[76:77], v57 offset0:93 offset1:148
	ds_read2_b32 v[78:79], v22 offset0:131 offset1:186
	;; [unrolled: 1-line block ×7, first 2 shown]
	s_waitcnt lgkmcnt(0)
	; wave barrier
	s_waitcnt lgkmcnt(0)
	ds_write2_b32 v19, v73, v89 offset1:11
	ds_write2_b32 v19, v91, v90 offset0:22 offset1:33
	ds_write_b32 v19, v88 offset:176
	ds_write2_b32 v21, v29, v92 offset1:11
	ds_write2_b32 v21, v48, v17 offset0:22 offset1:33
	ds_write_b32 v21, v46 offset:176
	;; [unrolled: 3-line block ×5, first 2 shown]
	v_mul_lo_u16_sdwa v11, v50, s0 dst_sel:DWORD dst_unused:UNUSED_PAD src0_sel:BYTE_0 src1_sel:DWORD
	v_lshrrev_b16_e32 v11, 13, v11
	v_mul_lo_u16_e32 v11, 55, v11
	v_sub_u16_e32 v11, v50, v11
	v_lshlrev_b32_e32 v24, 2, v122
	v_mov_b32_e32 v25, 0
	v_and_b32_e32 v11, 0xff, v11
	v_lshl_add_u64 v[14:15], v[24:25], 3, s[8:9]
	v_lshlrev_b32_e32 v12, 5, v11
	s_waitcnt lgkmcnt(0)
	; wave barrier
	s_waitcnt lgkmcnt(0)
	global_load_dwordx4 v[26:29], v[14:15], off offset:352
	global_load_dwordx4 v[34:37], v[14:15], off offset:368
	global_load_dwordx4 v[38:41], v12, s[8:9] offset:352
	global_load_dwordx4 v[42:45], v12, s[8:9] offset:368
	v_mul_lo_u16_sdwa v12, v59, s0 dst_sel:DWORD dst_unused:UNUSED_PAD src0_sel:BYTE_0 src1_sel:DWORD
	v_lshrrev_b16_e32 v12, 13, v12
	v_mul_lo_u16_e32 v12, 55, v12
	v_sub_u16_e32 v12, v59, v12
	v_and_b32_e32 v12, 0xff, v12
	v_lshlrev_b32_e32 v13, 5, v12
	global_load_dwordx4 v[46:49], v13, s[8:9] offset:352
	global_load_dwordx4 v[62:65], v13, s[8:9] offset:368
	v_mul_u32_u24_sdwa v13, v32, s1 dst_sel:DWORD dst_unused:UNUSED_PAD src0_sel:WORD_0 src1_sel:DWORD
	v_sub_u16_sdwa v16, v32, v13 dst_sel:DWORD dst_unused:UNUSED_PAD src0_sel:DWORD src1_sel:WORD_1
	v_lshrrev_b16_e32 v16, 1, v16
	v_add_u16_sdwa v13, v16, v13 dst_sel:DWORD dst_unused:UNUSED_PAD src0_sel:DWORD src1_sel:WORD_1
	v_lshrrev_b16_e32 v13, 5, v13
	v_mul_lo_u16_e32 v13, 55, v13
	v_sub_u16_e32 v13, v32, v13
	v_lshlrev_b32_e32 v16, 5, v13
	global_load_dwordx4 v[66:69], v16, s[8:9] offset:368
	global_load_dwordx4 v[70:73], v16, s[8:9] offset:352
	ds_read2_b32 v[16:17], v56 offset1:110
	ds_read2_b32 v[88:89], v20 offset0:19 offset1:74
	ds_read2_b32 v[90:91], v58 offset0:111 offset1:166
	;; [unrolled: 1-line block ×4, first 2 shown]
	ds_read_b32 v21, v60
	ds_read2_b32 v[96:97], v57 offset0:93 offset1:148
	ds_read2_b32 v[98:99], v22 offset0:131 offset1:186
	;; [unrolled: 1-line block ×7, first 2 shown]
	s_waitcnt lgkmcnt(0)
	; wave barrier
	s_waitcnt lgkmcnt(0)
	s_mov_b32 s0, 0x3e9e377a
	s_waitcnt vmcnt(7)
	v_mul_f32_e32 v23, v88, v27
	v_mul_f32_e32 v24, v30, v27
	v_fmac_f32_e32 v23, v30, v26
	v_fma_f32 v24, v88, v26, -v24
	v_mul_f32_e32 v30, v91, v29
	v_mul_f32_e32 v88, v89, v27
	;; [unrolled: 1-line block ×3, first 2 shown]
	v_fmac_f32_e32 v30, v53, v28
	v_mul_f32_e32 v33, v53, v29
	s_waitcnt vmcnt(6)
	v_mul_f32_e32 v53, v92, v35
	v_fmac_f32_e32 v88, v31, v26
	v_fma_f32 v26, v89, v26, -v27
	v_mul_f32_e32 v27, v96, v29
	v_mul_f32_e32 v29, v76, v29
	v_fma_f32 v33, v91, v28, -v33
	v_fmac_f32_e32 v53, v74, v34
	v_mul_f32_e32 v61, v74, v35
	v_mul_f32_e32 v74, v95, v37
	v_fmac_f32_e32 v27, v76, v28
	v_fma_f32 v28, v96, v28, -v29
	v_mul_f32_e32 v29, v93, v35
	v_mul_f32_e32 v31, v75, v35
	v_fma_f32 v61, v92, v34, -v61
	v_fmac_f32_e32 v74, v9, v36
	v_mul_f32_e32 v9, v9, v37
	v_fmac_f32_e32 v29, v75, v34
	v_fma_f32 v31, v93, v34, -v31
	v_mul_f32_e32 v34, v98, v37
	v_mul_f32_e32 v35, v78, v37
	v_fma_f32 v9, v95, v36, -v9
	v_fmac_f32_e32 v34, v78, v36
	v_fma_f32 v35, v98, v36, -v35
	s_waitcnt vmcnt(5)
	v_mul_f32_e32 v36, v100, v39
	v_mul_f32_e32 v37, v80, v39
	v_fmac_f32_e32 v36, v80, v38
	v_fma_f32 v37, v100, v38, -v37
	v_mul_f32_e32 v38, v97, v41
	v_mul_f32_e32 v39, v77, v41
	v_fmac_f32_e32 v38, v77, v40
	v_fma_f32 v39, v97, v40, -v39
	s_waitcnt vmcnt(4)
	v_mul_f32_e32 v40, v102, v43
	v_mul_f32_e32 v41, v82, v43
	v_fmac_f32_e32 v40, v82, v42
	v_fma_f32 v41, v102, v42, -v41
	v_mul_f32_e32 v42, v99, v45
	v_mul_f32_e32 v43, v79, v45
	;; [unrolled: 9-line block ×4, first 2 shown]
	v_fmac_f32_e32 v62, v86, v64
	v_fma_f32 v63, v106, v64, -v63
	s_waitcnt vmcnt(0)
	v_mul_f32_e32 v64, v90, v71
	v_fmac_f32_e32 v64, v52, v70
	v_mul_f32_e32 v52, v52, v71
	v_mul_f32_e32 v71, v94, v67
	v_fmac_f32_e32 v71, v8, v66
	v_mul_f32_e32 v8, v8, v67
	v_fma_f32 v52, v90, v70, -v52
	v_mul_f32_e32 v65, v105, v73
	v_mul_f32_e32 v70, v85, v73
	v_fma_f32 v8, v94, v66, -v8
	v_mul_f32_e32 v66, v107, v69
	v_mul_f32_e32 v67, v87, v69
	v_add_f32_e32 v69, v30, v53
	v_fmac_f32_e32 v65, v85, v72
	v_fma_f32 v70, v105, v72, -v70
	v_fma_f32 v69, -0.5, v69, v0
	v_sub_f32_e32 v72, v24, v9
	v_fmamk_f32 v73, v72, 0xbf737871, v69
	v_sub_f32_e32 v75, v33, v61
	v_sub_f32_e32 v76, v23, v30
	;; [unrolled: 1-line block ×3, first 2 shown]
	v_fmac_f32_e32 v69, 0x3f737871, v72
	v_fmac_f32_e32 v73, 0xbf167918, v75
	v_add_f32_e32 v76, v76, v77
	v_fmac_f32_e32 v69, 0x3f167918, v75
	v_fmac_f32_e32 v73, 0x3e9e377a, v76
	;; [unrolled: 1-line block ×3, first 2 shown]
	v_add_f32_e32 v76, v23, v74
	v_fmac_f32_e32 v66, v87, v68
	v_fma_f32 v67, v107, v68, -v67
	v_add_f32_e32 v68, v0, v23
	v_fma_f32 v0, -0.5, v76, v0
	v_add_f32_e32 v68, v68, v30
	v_fmamk_f32 v76, v75, 0x3f737871, v0
	v_sub_f32_e32 v77, v30, v23
	v_sub_f32_e32 v78, v53, v74
	v_fmac_f32_e32 v0, 0xbf737871, v75
	v_add_f32_e32 v75, v33, v61
	v_add_f32_e32 v68, v68, v53
	v_fmac_f32_e32 v76, 0xbf167918, v72
	v_add_f32_e32 v77, v77, v78
	v_fmac_f32_e32 v0, 0x3f167918, v72
	v_fma_f32 v75, -0.5, v75, v16
	v_sub_f32_e32 v23, v23, v74
	v_add_f32_e32 v68, v68, v74
	v_fmac_f32_e32 v76, 0x3e9e377a, v77
	v_fmac_f32_e32 v0, 0x3e9e377a, v77
	v_fmamk_f32 v74, v23, 0x3f737871, v75
	v_sub_f32_e32 v30, v30, v53
	v_sub_f32_e32 v53, v24, v33
	;; [unrolled: 1-line block ×3, first 2 shown]
	v_fmac_f32_e32 v75, 0xbf737871, v23
	v_fmac_f32_e32 v74, 0x3f167918, v30
	v_add_f32_e32 v53, v53, v77
	v_fmac_f32_e32 v75, 0xbf167918, v30
	v_add_f32_e32 v72, v16, v24
	v_fmac_f32_e32 v74, 0x3e9e377a, v53
	v_fmac_f32_e32 v75, 0x3e9e377a, v53
	v_add_f32_e32 v53, v24, v9
	v_add_f32_e32 v72, v72, v33
	v_fma_f32 v16, -0.5, v53, v16
	v_add_f32_e32 v72, v72, v61
	v_fmamk_f32 v77, v30, 0xbf737871, v16
	v_fmac_f32_e32 v16, 0x3f737871, v30
	v_add_f32_e32 v72, v72, v9
	v_fmac_f32_e32 v77, 0x3f167918, v23
	v_sub_f32_e32 v24, v33, v24
	v_sub_f32_e32 v9, v61, v9
	v_fmac_f32_e32 v16, 0xbf167918, v23
	v_add_f32_e32 v23, v27, v29
	v_add_f32_e32 v9, v24, v9
	v_fma_f32 v23, -0.5, v23, v10
	v_sub_f32_e32 v24, v26, v35
	v_fmamk_f32 v30, v24, 0xbf737871, v23
	v_sub_f32_e32 v33, v28, v31
	v_sub_f32_e32 v53, v88, v27
	;; [unrolled: 1-line block ×3, first 2 shown]
	v_fmac_f32_e32 v23, 0x3f737871, v24
	v_fmac_f32_e32 v30, 0xbf167918, v33
	v_add_f32_e32 v53, v53, v61
	v_fmac_f32_e32 v23, 0x3f167918, v33
	v_fmac_f32_e32 v77, 0x3e9e377a, v9
	;; [unrolled: 1-line block ×3, first 2 shown]
	v_add_f32_e32 v9, v10, v88
	v_fmac_f32_e32 v30, 0x3e9e377a, v53
	v_fmac_f32_e32 v23, 0x3e9e377a, v53
	v_add_f32_e32 v53, v88, v34
	v_add_f32_e32 v9, v9, v27
	v_fmac_f32_e32 v10, -0.5, v53
	v_add_f32_e32 v9, v9, v29
	v_fmamk_f32 v53, v33, 0x3f737871, v10
	v_sub_f32_e32 v61, v27, v88
	v_sub_f32_e32 v78, v29, v34
	v_fmac_f32_e32 v10, 0xbf737871, v33
	v_add_f32_e32 v33, v28, v31
	v_add_f32_e32 v9, v9, v34
	v_fmac_f32_e32 v53, 0xbf167918, v24
	v_add_f32_e32 v61, v61, v78
	v_fmac_f32_e32 v10, 0x3f167918, v24
	v_fma_f32 v33, -0.5, v33, v21
	v_sub_f32_e32 v34, v88, v34
	v_fmac_f32_e32 v53, 0x3e9e377a, v61
	v_fmac_f32_e32 v10, 0x3e9e377a, v61
	v_fmamk_f32 v61, v34, 0x3f737871, v33
	v_sub_f32_e32 v27, v27, v29
	v_sub_f32_e32 v29, v26, v28
	;; [unrolled: 1-line block ×3, first 2 shown]
	v_fmac_f32_e32 v33, 0xbf737871, v34
	v_fmac_f32_e32 v61, 0x3f167918, v27
	v_add_f32_e32 v29, v29, v78
	v_fmac_f32_e32 v33, 0xbf167918, v27
	v_fmac_f32_e32 v61, 0x3e9e377a, v29
	;; [unrolled: 1-line block ×3, first 2 shown]
	v_add_f32_e32 v29, v26, v35
	v_add_f32_e32 v24, v21, v26
	v_fmac_f32_e32 v21, -0.5, v29
	v_add_f32_e32 v24, v24, v28
	v_fmamk_f32 v29, v27, 0xbf737871, v21
	v_sub_f32_e32 v26, v28, v26
	v_sub_f32_e32 v28, v31, v35
	v_fmac_f32_e32 v21, 0x3f737871, v27
	v_add_f32_e32 v27, v38, v40
	v_add_f32_e32 v24, v24, v31
	;; [unrolled: 1-line block ×3, first 2 shown]
	v_fma_f32 v27, -0.5, v27, v1
	v_sub_f32_e32 v28, v37, v43
	v_add_f32_e32 v24, v24, v35
	v_fmac_f32_e32 v29, 0x3f167918, v34
	v_fmac_f32_e32 v21, 0xbf167918, v34
	v_fmamk_f32 v31, v28, 0xbf737871, v27
	v_sub_f32_e32 v34, v39, v41
	v_sub_f32_e32 v35, v36, v38
	;; [unrolled: 1-line block ×3, first 2 shown]
	v_fmac_f32_e32 v27, 0x3f737871, v28
	v_fmac_f32_e32 v31, 0xbf167918, v34
	v_add_f32_e32 v35, v35, v78
	v_fmac_f32_e32 v27, 0x3f167918, v34
	v_fmac_f32_e32 v31, 0x3e9e377a, v35
	;; [unrolled: 1-line block ×3, first 2 shown]
	v_add_f32_e32 v35, v36, v42
	v_fmac_f32_e32 v29, 0x3e9e377a, v26
	v_fmac_f32_e32 v21, 0x3e9e377a, v26
	v_add_f32_e32 v26, v1, v36
	v_fmac_f32_e32 v1, -0.5, v35
	v_add_f32_e32 v26, v26, v38
	v_fmamk_f32 v35, v34, 0x3f737871, v1
	v_sub_f32_e32 v78, v38, v36
	v_sub_f32_e32 v79, v40, v42
	v_fmac_f32_e32 v1, 0xbf737871, v34
	v_add_f32_e32 v34, v39, v41
	v_add_f32_e32 v26, v26, v40
	v_fmac_f32_e32 v35, 0xbf167918, v28
	v_add_f32_e32 v78, v78, v79
	v_fmac_f32_e32 v1, 0x3f167918, v28
	v_fma_f32 v34, -0.5, v34, v17
	v_sub_f32_e32 v36, v36, v42
	v_add_f32_e32 v26, v26, v42
	v_fmac_f32_e32 v35, 0x3e9e377a, v78
	v_fmac_f32_e32 v1, 0x3e9e377a, v78
	v_fmamk_f32 v42, v36, 0x3f737871, v34
	v_sub_f32_e32 v38, v38, v40
	v_sub_f32_e32 v40, v37, v39
	;; [unrolled: 1-line block ×3, first 2 shown]
	v_fmac_f32_e32 v34, 0xbf737871, v36
	v_fmac_f32_e32 v42, 0x3f167918, v38
	v_add_f32_e32 v40, v40, v78
	v_fmac_f32_e32 v34, 0xbf167918, v38
	v_fmac_f32_e32 v42, 0x3e9e377a, v40
	v_fmac_f32_e32 v34, 0x3e9e377a, v40
	v_add_f32_e32 v40, v37, v43
	v_add_f32_e32 v28, v17, v37
	v_fmac_f32_e32 v17, -0.5, v40
	v_add_f32_e32 v28, v28, v39
	v_fmamk_f32 v40, v38, 0xbf737871, v17
	v_sub_f32_e32 v37, v39, v37
	v_sub_f32_e32 v39, v41, v43
	v_fmac_f32_e32 v17, 0x3f737871, v38
	v_fmac_f32_e32 v40, 0x3f167918, v36
	v_add_f32_e32 v37, v37, v39
	v_fmac_f32_e32 v17, 0xbf167918, v36
	v_fmac_f32_e32 v40, 0x3e9e377a, v37
	;; [unrolled: 1-line block ×3, first 2 shown]
	v_add_f32_e32 v37, v46, v48
	v_add_f32_e32 v28, v28, v41
	v_fma_f32 v37, -0.5, v37, v6
	v_sub_f32_e32 v38, v45, v63
	v_add_f32_e32 v28, v28, v43
	v_fmamk_f32 v39, v38, 0xbf737871, v37
	v_sub_f32_e32 v41, v47, v49
	v_sub_f32_e32 v43, v44, v46
	;; [unrolled: 1-line block ×3, first 2 shown]
	v_fmac_f32_e32 v37, 0x3f737871, v38
	v_fmac_f32_e32 v39, 0xbf167918, v41
	v_add_f32_e32 v43, v43, v78
	v_fmac_f32_e32 v37, 0x3f167918, v41
	v_fmac_f32_e32 v39, 0x3e9e377a, v43
	;; [unrolled: 1-line block ×3, first 2 shown]
	v_add_f32_e32 v43, v44, v62
	v_add_f32_e32 v36, v6, v44
	v_fma_f32 v6, -0.5, v43, v6
	v_fmamk_f32 v43, v41, 0x3f737871, v6
	v_fmac_f32_e32 v6, 0xbf737871, v41
	v_fmac_f32_e32 v43, 0xbf167918, v38
	;; [unrolled: 1-line block ×3, first 2 shown]
	v_add_f32_e32 v38, v18, v45
	v_add_f32_e32 v38, v38, v47
	v_sub_f32_e32 v78, v46, v44
	v_sub_f32_e32 v79, v48, v62
	v_add_f32_e32 v38, v38, v49
	v_add_f32_e32 v36, v36, v46
	;; [unrolled: 1-line block ×6, first 2 shown]
	v_fmac_f32_e32 v43, 0x3e9e377a, v78
	v_fmac_f32_e32 v6, 0x3e9e377a, v78
	v_fma_f32 v78, -0.5, v38, v18
	v_sub_f32_e32 v38, v44, v62
	v_add_f32_e32 v36, v36, v62
	v_fmamk_f32 v62, v38, 0x3f737871, v78
	v_sub_f32_e32 v44, v46, v48
	v_sub_f32_e32 v46, v45, v47
	;; [unrolled: 1-line block ×3, first 2 shown]
	v_fmac_f32_e32 v78, 0xbf737871, v38
	v_fmac_f32_e32 v62, 0x3f167918, v44
	v_add_f32_e32 v46, v46, v48
	v_fmac_f32_e32 v78, 0xbf167918, v44
	v_fmac_f32_e32 v62, 0x3e9e377a, v46
	;; [unrolled: 1-line block ×3, first 2 shown]
	v_add_f32_e32 v46, v45, v63
	v_fma_f32 v18, -0.5, v46, v18
	v_fmamk_f32 v46, v44, 0xbf737871, v18
	v_sub_f32_e32 v45, v47, v45
	v_sub_f32_e32 v47, v49, v63
	v_fmac_f32_e32 v18, 0x3f737871, v44
	v_fmac_f32_e32 v46, 0x3f167918, v38
	v_add_f32_e32 v45, v45, v47
	v_fmac_f32_e32 v18, 0xbf167918, v38
	v_add_f32_e32 v44, v65, v71
	v_fmac_f32_e32 v46, 0x3e9e377a, v45
	v_fmac_f32_e32 v18, 0x3e9e377a, v45
	v_fma_f32 v44, -0.5, v44, v7
	v_sub_f32_e32 v45, v52, v67
	v_fmamk_f32 v47, v45, 0xbf737871, v44
	v_sub_f32_e32 v48, v70, v8
	v_sub_f32_e32 v49, v64, v65
	;; [unrolled: 1-line block ×3, first 2 shown]
	v_fmac_f32_e32 v44, 0x3f737871, v45
	v_fmac_f32_e32 v47, 0xbf167918, v48
	v_add_f32_e32 v49, v49, v63
	v_fmac_f32_e32 v44, 0x3f167918, v48
	v_fmac_f32_e32 v47, 0x3e9e377a, v49
	;; [unrolled: 1-line block ×3, first 2 shown]
	v_add_f32_e32 v49, v64, v66
	v_add_f32_e32 v38, v7, v64
	v_fmac_f32_e32 v7, -0.5, v49
	v_fmamk_f32 v49, v48, 0x3f737871, v7
	v_sub_f32_e32 v63, v65, v64
	v_sub_f32_e32 v79, v71, v66
	v_fmac_f32_e32 v7, 0xbf737871, v48
	v_add_f32_e32 v38, v38, v65
	v_fmac_f32_e32 v49, 0xbf167918, v45
	v_add_f32_e32 v63, v63, v79
	;; [unrolled: 2-line block ×3, first 2 shown]
	v_add_f32_e32 v38, v38, v71
	v_fmac_f32_e32 v49, 0x3e9e377a, v63
	v_fmac_f32_e32 v7, 0x3e9e377a, v63
	v_fma_f32 v63, -0.5, v48, v19
	v_sub_f32_e32 v48, v64, v66
	v_add_f32_e32 v38, v38, v66
	v_add_f32_e32 v45, v19, v52
	v_fmamk_f32 v64, v48, 0x3f737871, v63
	v_sub_f32_e32 v65, v65, v71
	v_sub_f32_e32 v66, v52, v70
	;; [unrolled: 1-line block ×3, first 2 shown]
	v_fmac_f32_e32 v63, 0xbf737871, v48
	v_add_f32_e32 v45, v45, v70
	v_fmac_f32_e32 v64, 0x3f167918, v65
	v_add_f32_e32 v66, v66, v71
	;; [unrolled: 2-line block ×3, first 2 shown]
	v_fmac_f32_e32 v64, 0x3e9e377a, v66
	v_fmac_f32_e32 v63, 0x3e9e377a, v66
	v_add_f32_e32 v66, v52, v67
	v_add_f32_e32 v45, v45, v67
	v_fmac_f32_e32 v19, -0.5, v66
	v_sub_f32_e32 v8, v8, v67
	v_lshl_add_u32 v67, v11, 2, 0
	v_fmamk_f32 v66, v65, 0xbf737871, v19
	v_fmac_f32_e32 v19, 0x3f737871, v65
	ds_write2_b32 v56, v68, v73 offset1:55
	ds_write2_b32 v56, v76, v0 offset0:110 offset1:165
	v_add_u32_e32 v65, 0x200, v56
	v_add_u32_e32 v68, 0x800, v67
	ds_write2_b32 v65, v69, v9 offset0:92 offset1:147
	ds_write2_b32 v20, v30, v53 offset0:74 offset1:129
	;; [unrolled: 1-line block ×5, first 2 shown]
	ds_write_b32 v67, v27 offset:3080
	v_lshl_add_u32 v35, v12, 2, 0
	v_add_u32_e32 v69, 0xc00, v35
	v_sub_f32_e32 v52, v70, v52
	ds_write2_b32 v69, v36, v39 offset0:57 offset1:112
	ds_write2_b32 v69, v43, v6 offset0:167 offset1:222
	ds_write_b32 v35, v37 offset:4180
	v_lshl_add_u32 v43, v13, 2, 0
	v_fmac_f32_e32 v66, 0x3f167918, v48
	v_add_f32_e32 v8, v52, v8
	v_fmac_f32_e32 v19, 0xbf167918, v48
	v_add_u32_e32 v70, 0x1000, v43
	v_fmac_f32_e32 v66, 0x3e9e377a, v8
	v_fmac_f32_e32 v19, 0x3e9e377a, v8
	ds_write2_b32 v70, v38, v47 offset0:76 offset1:131
	ds_write2_b32 v70, v49, v7 offset0:186 offset1:241
	ds_write_b32 v43, v44 offset:5280
	s_waitcnt lgkmcnt(0)
	; wave barrier
	s_waitcnt lgkmcnt(0)
	ds_read2_b32 v[30:31], v56 offset1:110
	ds_read2_b32 v[52:53], v20 offset0:19 offset1:74
	ds_read2_b32 v[8:9], v58 offset0:111 offset1:166
	;; [unrolled: 1-line block ×4, first 2 shown]
	ds_read_b32 v44, v60
	ds_read2_b32 v[36:37], v57 offset0:93 offset1:148
	ds_read2_b32 v[38:39], v22 offset0:131 offset1:186
	;; [unrolled: 1-line block ×7, first 2 shown]
	s_waitcnt lgkmcnt(0)
	; wave barrier
	s_waitcnt lgkmcnt(0)
	ds_write2_b32 v56, v72, v74 offset1:55
	ds_write2_b32 v56, v77, v16 offset0:110 offset1:165
	ds_write2_b32 v65, v75, v24 offset0:92 offset1:147
	;; [unrolled: 1-line block ×6, first 2 shown]
	ds_write_b32 v67, v34 offset:3080
	ds_write2_b32 v69, v41, v62 offset0:57 offset1:112
	ds_write2_b32 v69, v46, v18 offset0:167 offset1:222
	ds_write_b32 v35, v78 offset:4180
	ds_write2_b32 v70, v45, v64 offset0:76 offset1:131
	ds_write2_b32 v70, v66, v19 offset0:186 offset1:241
	ds_write_b32 v43, v63 offset:5280
	s_waitcnt lgkmcnt(0)
	; wave barrier
	s_waitcnt lgkmcnt(0)
	s_and_saveexec_b64 s[12:13], vcc
	s_cbranch_execz .LBB0_21
; %bb.20:
	global_load_dwordx4 v[62:65], v[14:15], off offset:2128
	global_load_dwordx4 v[66:69], v[14:15], off offset:2112
	v_lshlrev_b32_e32 v24, 2, v32
	v_mul_lo_u32 v16, s3, v4
	v_mul_lo_u32 v5, s2, v5
	v_mad_u64_u32 v[70:71], s[2:3], s2, v4, 0
	v_add_u32_e32 v4, 0x600, v56
	v_lshl_add_u64 v[28:29], v[24:25], 3, s[8:9]
	v_lshlrev_b32_e32 v24, 2, v59
	ds_read2_b32 v[20:21], v4 offset0:111 offset1:166
	v_add_u32_e32 v4, 0xa00, v56
	v_lshl_add_u64 v[42:43], v[24:25], 3, s[8:9]
	v_lshlrev_b32_e32 v24, 2, v50
	v_add3_u32 v71, v71, v5, v16
	ds_read2_b32 v[16:17], v4 offset0:75 offset1:130
	v_add_u32_e32 v4, 0x1200, v56
	v_add_u32_e32 v40, 0x1000, v56
	;; [unrolled: 1-line block ×4, first 2 shown]
	v_lshl_add_u64 v[54:55], v[24:25], 3, s[8:9]
	v_add_u32_e32 v24, 0x800, v56
	s_mov_b32 s1, 0xdca01dcb
	ds_read2_b32 v[18:19], v4 offset0:113 offset1:168
	ds_read2_b32 v[14:15], v40 offset0:21 offset1:76
	;; [unrolled: 1-line block ×7, first 2 shown]
	ds_read2_b32 v[40:41], v56 offset1:110
	v_lshlrev_b32_e32 v24, 2, v123
	v_mul_hi_u32 v56, v122, s1
	v_lshl_add_u64 v[72:73], v[24:25], 3, s[8:9]
	ds_read2_b32 v[24:25], v57 offset0:57 offset1:112
	ds_read2_b32 v[74:75], v45 offset0:19 offset1:74
	ds_read_b32 v45, v60
	v_sub_u32_e32 v57, v122, v56
	v_lshrrev_b32_e32 v57, 1, v57
	v_add_u32_e32 v56, v57, v56
	v_lshrrev_b32_e32 v56, 8, v56
	v_mul_u32_u24_e32 v56, 0x113, v56
	v_sub_u32_e32 v60, v122, v56
	v_mad_u64_u32 v[56:57], s[2:3], s16, v60, 0
	v_mov_b32_e32 v58, v57
	v_mad_u64_u32 v[58:59], s[2:3], s17, v60, v[58:59]
	v_mov_b32_e32 v57, v58
	v_lshl_add_u64 v[58:59], v[70:71], 3, s[6:7]
	v_lshl_add_u64 v[2:3], v[2:3], 3, v[58:59]
	v_add_u32_e32 v59, 0x113, v60
	v_lshl_add_u64 v[70:71], v[56:57], 3, v[2:3]
	v_mad_u64_u32 v[56:57], s[2:3], s16, v59, 0
	v_mov_b32_e32 v58, v57
	v_mad_u64_u32 v[58:59], s[2:3], s17, v59, v[58:59]
	v_mov_b32_e32 v57, v58
	v_add_u32_e32 v59, 0x226, v60
	v_lshl_add_u64 v[76:77], v[56:57], 3, v[2:3]
	v_mad_u64_u32 v[56:57], s[2:3], s16, v59, 0
	v_mov_b32_e32 v58, v57
	v_mad_u64_u32 v[58:59], s[2:3], s17, v59, v[58:59]
	v_mov_b32_e32 v57, v58
	;; [unrolled: 6-line block ×4, first 2 shown]
	v_lshl_add_u64 v[82:83], v[56:57], 3, v[2:3]
	v_mov_b32_e32 v88, v30
	s_waitcnt lgkmcnt(3)
	v_mov_b32_e32 v89, v40
	s_waitcnt vmcnt(0) lgkmcnt(1)
	v_pk_mul_f32 v[56:57], v[74:75], v[66:67] op_sel_hi:[0,1]
	v_pk_fma_f32 v[84:85], v[52:53], v[66:67], v[56:57] op_sel:[0,0,1] op_sel_hi:[1,1,0]
	v_pk_fma_f32 v[56:57], v[52:53], v[66:67], v[56:57] op_sel:[0,0,1] op_sel_hi:[0,1,0] neg_lo:[1,0,0] neg_hi:[1,0,0]
	v_mov_b32_e32 v52, v15
	v_mov_b32_e32 v85, v57
	v_pk_mul_f32 v[56:57], v[52:53], v[64:65] op_sel_hi:[0,1]
	v_mov_b32_e32 v52, v1
	v_pk_fma_f32 v[66:67], v[52:53], v[64:65], v[56:57] op_sel:[0,0,1] op_sel_hi:[1,1,0]
	v_pk_fma_f32 v[56:57], v[52:53], v[64:65], v[56:57] op_sel:[0,0,1] op_sel_hi:[0,1,0] neg_lo:[1,0,0] neg_hi:[1,0,0]
	v_mov_b32_e32 v52, v21
	v_mov_b32_e32 v67, v57
	v_pk_mul_f32 v[56:57], v[52:53], v[68:69] op_sel_hi:[0,1]
	v_mov_b32_e32 v52, v9
	v_pk_fma_f32 v[64:65], v[52:53], v[68:69], v[56:57] op_sel:[0,0,1] op_sel_hi:[1,1,0]
	v_pk_fma_f32 v[56:57], v[52:53], v[68:69], v[56:57] op_sel:[0,0,1] op_sel_hi:[0,1,0] neg_lo:[1,0,0] neg_hi:[1,0,0]
	v_mov_b32_e32 v65, v57
	v_pk_mul_f32 v[56:57], v[24:25], v[62:63] op_sel_hi:[0,1]
	v_pk_fma_f32 v[68:69], v[48:49], v[62:63], v[56:57] op_sel:[0,0,1] op_sel_hi:[1,1,0]
	v_pk_fma_f32 v[56:57], v[48:49], v[62:63], v[56:57] op_sel:[0,0,1] op_sel_hi:[0,1,0] neg_lo:[1,0,0] neg_hi:[1,0,0]
	v_mov_b32_e32 v69, v57
	v_pk_add_f32 v[56:57], v[84:85], v[64:65] neg_lo:[0,1] neg_hi:[0,1]
	v_pk_add_f32 v[58:59], v[66:67], v[68:69] neg_lo:[0,1] neg_hi:[0,1]
	;; [unrolled: 1-line block ×3, first 2 shown]
	v_pk_add_f32 v[86:87], v[56:57], v[58:59]
	v_pk_add_f32 v[56:57], v[64:65], v[68:69]
	v_pk_add_f32 v[94:95], v[64:65], v[68:69] neg_lo:[0,1] neg_hi:[0,1]
	v_pk_fma_f32 v[56:57], v[56:57], 0.5, v[88:89] op_sel_hi:[1,0,1] neg_lo:[1,0,0] neg_hi:[1,0,0]
	v_pk_add_f32 v[98:99], v[88:89], v[84:85]
	v_pk_fma_f32 v[92:93], v[90:91], s[10:11], v[56:57] op_sel:[1,0,0] op_sel_hi:[0,0,1]
	v_pk_fma_f32 v[56:57], v[90:91], s[10:11], v[56:57] op_sel:[1,0,0] op_sel_hi:[0,0,1] neg_lo:[1,0,0] neg_hi:[1,0,0]
	v_pk_fma_f32 v[96:97], v[94:95], s[4:5], v[56:57] op_sel:[1,0,0] op_sel_hi:[0,0,1] neg_lo:[1,0,0] neg_hi:[1,0,0]
	global_load_dwordx4 v[56:59], v[72:73], off offset:2128
	global_load_dwordx4 v[60:63], v[72:73], off offset:2112
	v_add_u32_e32 v1, 55, v122
	v_pk_add_f32 v[98:99], v[98:99], v[64:65]
	v_mul_hi_u32 v9, v1, s1
	v_pk_add_f32 v[98:99], v[98:99], v[68:69]
	v_sub_u32_e32 v15, v1, v9
	v_pk_add_f32 v[98:99], v[66:67], v[98:99]
	v_pk_add_f32 v[68:69], v[68:69], v[66:67] neg_lo:[0,1] neg_hi:[0,1]
	v_pk_add_f32 v[66:67], v[84:85], v[66:67]
	v_lshrrev_b32_e32 v15, 1, v15
	v_pk_fma_f32 v[72:73], v[94:95], s[4:5], v[92:93] op_sel:[1,0,0] op_sel_hi:[0,0,1]
	v_pk_add_f32 v[64:65], v[64:65], v[84:85] neg_lo:[0,1] neg_hi:[0,1]
	v_pk_fma_f32 v[66:67], v[66:67], 0.5, v[88:89] op_sel_hi:[1,0,1] neg_lo:[1,0,0] neg_hi:[1,0,0]
	v_add_u32_e32 v9, v15, v9
	v_mov_b32_e32 v93, v97
	v_mov_b32_e32 v97, v73
	v_pk_add_f32 v[64:65], v[64:65], v[68:69]
	v_pk_fma_f32 v[68:69], v[94:95], s[10:11], v[66:67] op_sel:[1,0,0] op_sel_hi:[0,0,1] neg_lo:[1,0,0] neg_hi:[1,0,0]
	v_pk_fma_f32 v[66:67], v[94:95], s[10:11], v[66:67] op_sel:[1,0,0] op_sel_hi:[0,0,1]
	v_lshrrev_b32_e32 v9, 8, v9
	global_store_dwordx2 v[70:71], v[98:99], off
	v_pk_fma_f32 v[70:71], v[86:87], s[0:1], v[96:97] op_sel_hi:[1,0,1]
	v_pk_fma_f32 v[66:67], v[90:91], s[4:5], v[66:67] op_sel:[1,0,0] op_sel_hi:[0,0,1] neg_lo:[1,0,0] neg_hi:[1,0,0]
	v_pk_fma_f32 v[68:69], v[90:91], s[4:5], v[68:69] op_sel:[1,0,0] op_sel_hi:[0,0,1]
	v_mul_u32_u24_e32 v15, 0x113, v9
	global_store_dwordx2 v[76:77], v[70:71], off
	v_mov_b32_e32 v70, v68
	v_mov_b32_e32 v71, v67
	;; [unrolled: 1-line block ×3, first 2 shown]
	v_sub_u32_e32 v1, v1, v15
	s_movk_i32 s2, 0x55f
	v_mov_b32_e32 v92, v72
	v_pk_fma_f32 v[70:71], v[64:65], s[0:1], v[70:71] op_sel_hi:[1,0,1]
	v_pk_fma_f32 v[64:65], v[64:65], s[0:1], v[66:67] op_sel_hi:[1,0,1]
	v_mad_u32_u24 v1, v9, s2, v1
	v_pk_fma_f32 v[92:93], v[86:87], s[0:1], v[92:93] op_sel_hi:[1,0,1]
	global_store_dwordx2 v[78:79], v[64:65], off
	global_store_dwordx2 v[80:81], v[70:71], off
	;; [unrolled: 1-line block ×3, first 2 shown]
	v_mad_u64_u32 v[64:65], s[6:7], s16, v1, 0
	v_mov_b32_e32 v24, v65
	v_mad_u64_u32 v[66:67], s[6:7], s17, v1, v[24:25]
	v_add_u32_e32 v9, 0x113, v1
	v_mov_b32_e32 v65, v66
	v_mad_u64_u32 v[66:67], s[6:7], s16, v9, 0
	v_mov_b32_e32 v24, v67
	v_mad_u64_u32 v[68:69], s[6:7], s17, v9, v[24:25]
	v_add_u32_e32 v9, 0x226, v1
	v_mov_b32_e32 v67, v68
	;; [unrolled: 5-line block ×4, first 2 shown]
	v_mad_u64_u32 v[72:73], s[6:7], s16, v1, 0
	v_mov_b32_e32 v24, v73
	v_mad_u64_u32 v[76:77], s[6:7], s17, v1, v[24:25]
	v_mov_b32_e32 v24, v75
	v_mov_b32_e32 v73, v76
	;; [unrolled: 1-line block ×3, first 2 shown]
	v_add_u32_e32 v1, 0x6e, v122
	v_mul_hi_u32 v9, v1, s1
	v_lshl_add_u64 v[64:65], v[64:65], 3, v[2:3]
	v_lshl_add_u64 v[66:67], v[66:67], 3, v[2:3]
	v_sub_u32_e32 v15, v1, v9
	v_lshrrev_b32_e32 v15, 1, v15
	v_add_u32_e32 v9, v15, v9
	s_waitcnt vmcnt(5)
	v_pk_mul_f32 v[74:75], v[24:25], v[60:61] op_sel_hi:[0,1]
	v_mov_b32_e32 v24, v53
	v_pk_fma_f32 v[76:77], v[24:25], v[60:61], v[74:75] op_sel:[0,0,1] op_sel_hi:[1,1,0]
	v_pk_fma_f32 v[52:53], v[24:25], v[60:61], v[74:75] op_sel:[0,0,1] op_sel_hi:[0,1,0] neg_lo:[1,0,0] neg_hi:[1,0,0]
	v_mov_b32_e32 v77, v53
	v_pk_mul_f32 v[52:53], v[46:47], v[62:63] op_sel_hi:[0,1]
	v_mov_b32_e32 v24, v25
	v_pk_fma_f32 v[74:75], v[36:37], v[62:63], v[52:53] op_sel:[0,0,1] op_sel_hi:[1,1,0]
	v_pk_fma_f32 v[52:53], v[36:37], v[62:63], v[52:53] op_sel:[0,0,1] op_sel_hi:[0,1,0] neg_lo:[1,0,0] neg_hi:[1,0,0]
	v_pk_mul_f32 v[24:25], v[24:25], v[56:57] op_sel_hi:[0,1]
	v_mov_b32_e32 v75, v53
	v_pk_fma_f32 v[52:53], v[30:31], v[56:57], v[24:25] op_sel:[0,0,1] op_sel_hi:[1,1,0]
	v_pk_fma_f32 v[24:25], v[30:31], v[56:57], v[24:25] op_sel:[0,0,1] op_sel_hi:[0,1,0] neg_lo:[1,0,0] neg_hi:[1,0,0]
	v_mov_b32_e32 v53, v25
	v_pk_mul_f32 v[24:25], v[50:51], v[58:59] op_sel_hi:[0,1]
	v_pk_fma_f32 v[48:49], v[38:39], v[58:59], v[24:25] op_sel:[0,0,1] op_sel_hi:[1,1,0]
	v_pk_fma_f32 v[24:25], v[38:39], v[58:59], v[24:25] op_sel:[0,0,1] op_sel_hi:[0,1,0] neg_lo:[1,0,0] neg_hi:[1,0,0]
	v_mov_b32_e32 v49, v25
	v_pk_add_f32 v[56:57], v[52:53], v[74:75]
	v_pk_add_f32 v[58:59], v[48:49], v[52:53] neg_lo:[0,1] neg_hi:[0,1]
	s_waitcnt lgkmcnt(0)
	v_pk_fma_f32 v[80:81], v[56:57], 0.5, v[44:45] op_sel_hi:[1,0,1] neg_lo:[1,0,0] neg_hi:[1,0,0]
	v_pk_add_f32 v[56:57], v[76:77], v[74:75] neg_lo:[0,1] neg_hi:[0,1]
	v_pk_add_f32 v[78:79], v[76:77], v[48:49] neg_lo:[0,1] neg_hi:[0,1]
	v_pk_add_f32 v[82:83], v[58:59], v[56:57]
	global_load_dwordx4 v[56:59], v[54:55], off offset:2128
	global_load_dwordx4 v[60:63], v[54:55], off offset:2112
	v_pk_add_f32 v[24:25], v[74:75], v[52:53] neg_lo:[0,1] neg_hi:[0,1]
	v_pk_fma_f32 v[84:85], v[78:79], s[10:11], v[80:81] op_sel:[1,0,0] op_sel_hi:[0,0,1]
	v_pk_fma_f32 v[54:55], v[78:79], s[10:11], v[80:81] op_sel:[1,0,0] op_sel_hi:[0,0,1] neg_lo:[1,0,0] neg_hi:[1,0,0]
	v_pk_add_f32 v[86:87], v[44:45], v[76:77]
	v_pk_fma_f32 v[54:55], v[24:25], s[4:5], v[54:55] op_sel:[1,0,0] op_sel_hi:[0,0,1] neg_lo:[1,0,0] neg_hi:[1,0,0]
	v_pk_fma_f32 v[80:81], v[24:25], s[4:5], v[84:85] op_sel:[1,0,0] op_sel_hi:[0,0,1]
	v_pk_add_f32 v[86:87], v[74:75], v[86:87]
	v_mov_b32_e32 v85, v55
	v_pk_add_f32 v[86:87], v[52:53], v[86:87]
	v_mov_b32_e32 v55, v81
	v_pk_add_f32 v[86:87], v[48:49], v[86:87]
	v_pk_fma_f32 v[54:55], v[82:83], s[0:1], v[54:55] op_sel_hi:[1,0,1]
	global_store_dwordx2 v[64:65], v[86:87], off
	global_store_dwordx2 v[66:67], v[54:55], off
	v_pk_add_f32 v[54:55], v[48:49], v[76:77]
	v_pk_add_f32 v[48:49], v[52:53], v[48:49] neg_lo:[0,1] neg_hi:[0,1]
	v_pk_fma_f32 v[44:45], v[54:55], 0.5, v[44:45] op_sel_hi:[1,0,1] neg_lo:[1,0,0] neg_hi:[1,0,0]
	v_lshrrev_b32_e32 v9, 8, v9
	v_pk_fma_f32 v[52:53], v[24:25], s[10:11], v[44:45] op_sel:[1,0,0] op_sel_hi:[0,0,1] neg_lo:[1,0,0] neg_hi:[1,0,0]
	v_pk_fma_f32 v[24:25], v[24:25], s[10:11], v[44:45] op_sel:[1,0,0] op_sel_hi:[0,0,1]
	v_pk_add_f32 v[54:55], v[74:75], v[76:77] neg_lo:[0,1] neg_hi:[0,1]
	v_pk_fma_f32 v[24:25], v[78:79], s[4:5], v[24:25] op_sel:[1,0,0] op_sel_hi:[0,0,1] neg_lo:[1,0,0] neg_hi:[1,0,0]
	v_pk_fma_f32 v[44:45], v[78:79], s[4:5], v[52:53] op_sel:[1,0,0] op_sel_hi:[0,0,1]
	v_mul_u32_u24_e32 v15, 0x113, v9
	v_pk_add_f32 v[48:49], v[48:49], v[54:55]
	v_mov_b32_e32 v53, v25
	v_mov_b32_e32 v25, v45
	v_sub_u32_e32 v1, v1, v15
	v_lshl_add_u64 v[68:69], v[68:69], 3, v[2:3]
	v_mov_b32_e32 v84, v80
	v_mov_b32_e32 v52, v44
	v_pk_fma_f32 v[24:25], v[48:49], s[0:1], v[24:25] op_sel_hi:[1,0,1]
	v_mad_u32_u24 v1, v9, s2, v1
	v_lshl_add_u64 v[70:71], v[70:71], 3, v[2:3]
	v_lshl_add_u64 v[72:73], v[72:73], 3, v[2:3]
	v_pk_fma_f32 v[84:85], v[82:83], s[0:1], v[84:85] op_sel_hi:[1,0,1]
	v_pk_fma_f32 v[52:53], v[48:49], s[0:1], v[52:53] op_sel_hi:[1,0,1]
	global_store_dwordx2 v[68:69], v[24:25], off
	global_store_dwordx2 v[70:71], v[52:53], off
	;; [unrolled: 1-line block ×3, first 2 shown]
	v_mad_u64_u32 v[24:25], s[6:7], s16, v1, 0
	v_mov_b32_e32 v30, v25
	v_mad_u64_u32 v[44:45], s[6:7], s17, v1, v[30:31]
	v_add_u32_e32 v9, 0x113, v1
	v_mov_b32_e32 v25, v44
	v_mad_u64_u32 v[44:45], s[6:7], s16, v9, 0
	v_mov_b32_e32 v30, v45
	v_mad_u64_u32 v[48:49], s[6:7], s17, v9, v[30:31]
	v_mov_b32_e32 v45, v48
	v_add_u32_e32 v9, 0x226, v1
	v_lshl_add_u64 v[48:49], v[44:45], 3, v[2:3]
	v_mad_u64_u32 v[44:45], s[6:7], s16, v9, 0
	v_mov_b32_e32 v30, v45
	v_mad_u64_u32 v[52:53], s[6:7], s17, v9, v[30:31]
	v_mov_b32_e32 v45, v52
	v_add_u32_e32 v9, 0x339, v1
	v_lshl_add_u64 v[52:53], v[44:45], 3, v[2:3]
	;; [unrolled: 6-line block ×3, first 2 shown]
	v_mad_u64_u32 v[44:45], s[6:7], s16, v1, 0
	v_mov_b32_e32 v30, v45
	v_mad_u64_u32 v[64:65], s[6:7], s17, v1, v[30:31]
	v_mov_b32_e32 v45, v64
	v_lshl_add_u64 v[64:65], v[44:45], 3, v[2:3]
	v_mov_b32_e32 v40, v31
	v_lshl_add_u64 v[24:25], v[24:25], 3, v[2:3]
	v_add_u32_e32 v1, 0xa5, v122
	s_waitcnt vmcnt(5)
	v_pk_mul_f32 v[44:45], v[32:33], v[60:61] op_sel_hi:[0,1]
	v_pk_fma_f32 v[66:67], v[22:23], v[60:61], v[44:45] op_sel:[0,0,1] op_sel_hi:[1,1,0]
	v_pk_fma_f32 v[44:45], v[22:23], v[60:61], v[44:45] op_sel:[0,0,1] op_sel_hi:[0,1,0] neg_lo:[1,0,0] neg_hi:[1,0,0]
	v_mov_b32_e32 v22, v51
	v_mov_b32_e32 v67, v45
	v_pk_mul_f32 v[44:45], v[22:23], v[58:59] op_sel_hi:[0,1]
	v_mov_b32_e32 v22, v39
	v_pk_fma_f32 v[50:51], v[22:23], v[58:59], v[44:45] op_sel:[0,0,1] op_sel_hi:[1,1,0]
	v_pk_fma_f32 v[38:39], v[22:23], v[58:59], v[44:45] op_sel:[0,0,1] op_sel_hi:[0,1,0] neg_lo:[1,0,0] neg_hi:[1,0,0]
	v_mov_b32_e32 v22, v47
	v_mov_b32_e32 v51, v39
	v_pk_mul_f32 v[38:39], v[22:23], v[62:63] op_sel_hi:[0,1]
	v_mov_b32_e32 v22, v37
	v_pk_fma_f32 v[58:59], v[22:23], v[62:63], v[38:39] op_sel:[0,0,1] op_sel_hi:[1,1,0]
	v_pk_fma_f32 v[36:37], v[22:23], v[62:63], v[38:39] op_sel:[0,0,1] op_sel_hi:[0,1,0] neg_lo:[1,0,0] neg_hi:[1,0,0]
	v_mov_b32_e32 v59, v37
	v_pk_mul_f32 v[36:37], v[34:35], v[56:57] op_sel_hi:[0,1]
	v_pk_fma_f32 v[60:61], v[26:27], v[56:57], v[36:37] op_sel:[0,0,1] op_sel_hi:[1,1,0]
	v_pk_fma_f32 v[36:37], v[26:27], v[56:57], v[36:37] op_sel:[0,0,1] op_sel_hi:[0,1,0] neg_lo:[1,0,0] neg_hi:[1,0,0]
	v_mov_b32_e32 v61, v37
	v_pk_add_f32 v[36:37], v[66:67], v[58:59] neg_lo:[0,1] neg_hi:[0,1]
	v_pk_add_f32 v[38:39], v[50:51], v[60:61] neg_lo:[0,1] neg_hi:[0,1]
	;; [unrolled: 1-line block ×3, first 2 shown]
	v_pk_add_f32 v[56:57], v[36:37], v[38:39]
	v_pk_add_f32 v[36:37], v[58:59], v[60:61]
	;; [unrolled: 1-line block ×3, first 2 shown]
	v_pk_fma_f32 v[30:31], v[36:37], 0.5, v[40:41] op_sel_hi:[1,0,1] neg_lo:[1,0,0] neg_hi:[1,0,0]
	global_load_dwordx4 v[36:39], v[42:43], off offset:2128
	global_load_dwordx4 v[44:47], v[42:43], off offset:2112
	v_pk_fma_f32 v[68:69], v[62:63], s[10:11], v[30:31] op_sel:[1,0,0] op_sel_hi:[0,0,1]
	v_pk_fma_f32 v[30:31], v[62:63], s[10:11], v[30:31] op_sel:[1,0,0] op_sel_hi:[0,0,1] neg_lo:[1,0,0] neg_hi:[1,0,0]
	v_pk_add_f32 v[42:43], v[58:59], v[60:61] neg_lo:[0,1] neg_hi:[0,1]
	v_pk_add_f32 v[72:73], v[72:73], v[58:59]
	v_pk_fma_f32 v[30:31], v[42:43], s[4:5], v[30:31] op_sel:[1,0,0] op_sel_hi:[0,0,1] neg_lo:[1,0,0] neg_hi:[1,0,0]
	v_pk_fma_f32 v[68:69], v[42:43], s[4:5], v[68:69] op_sel:[1,0,0] op_sel_hi:[0,0,1]
	v_pk_add_f32 v[72:73], v[72:73], v[60:61]
	v_mov_b32_e32 v71, v31
	v_pk_add_f32 v[72:73], v[50:51], v[72:73]
	v_mov_b32_e32 v31, v69
	global_store_dwordx2 v[24:25], v[72:73], off
	v_pk_fma_f32 v[24:25], v[56:57], s[0:1], v[30:31] op_sel_hi:[1,0,1]
	v_mul_hi_u32 v9, v1, s1
	global_store_dwordx2 v[48:49], v[24:25], off
	v_pk_add_f32 v[24:25], v[58:59], v[66:67] neg_lo:[0,1] neg_hi:[0,1]
	v_pk_add_f32 v[30:31], v[60:61], v[50:51] neg_lo:[0,1] neg_hi:[0,1]
	v_sub_u32_e32 v15, v1, v9
	v_pk_add_f32 v[24:25], v[24:25], v[30:31]
	v_pk_add_f32 v[30:31], v[66:67], v[50:51]
	v_lshrrev_b32_e32 v15, 1, v15
	v_pk_fma_f32 v[30:31], v[30:31], 0.5, v[40:41] op_sel_hi:[1,0,1] neg_lo:[1,0,0] neg_hi:[1,0,0]
	v_add_u32_e32 v9, v15, v9
	v_pk_fma_f32 v[40:41], v[42:43], s[10:11], v[30:31] op_sel:[1,0,0] op_sel_hi:[0,0,1] neg_lo:[1,0,0] neg_hi:[1,0,0]
	v_pk_fma_f32 v[30:31], v[42:43], s[10:11], v[30:31] op_sel:[1,0,0] op_sel_hi:[0,0,1]
	v_lshrrev_b32_e32 v9, 8, v9
	v_pk_fma_f32 v[30:31], v[62:63], s[4:5], v[30:31] op_sel:[1,0,0] op_sel_hi:[0,0,1] neg_lo:[1,0,0] neg_hi:[1,0,0]
	v_pk_fma_f32 v[40:41], v[62:63], s[4:5], v[40:41] op_sel:[1,0,0] op_sel_hi:[0,0,1]
	v_mul_u32_u24_e32 v15, 0x113, v9
	v_mov_b32_e32 v42, v40
	v_mov_b32_e32 v43, v31
	;; [unrolled: 1-line block ×3, first 2 shown]
	v_sub_u32_e32 v1, v1, v15
	v_mov_b32_e32 v70, v68
	v_pk_fma_f32 v[42:43], v[24:25], s[0:1], v[42:43] op_sel_hi:[1,0,1]
	v_pk_fma_f32 v[24:25], v[24:25], s[0:1], v[30:31] op_sel_hi:[1,0,1]
	v_mad_u32_u24 v1, v9, s2, v1
	v_pk_fma_f32 v[70:71], v[56:57], s[0:1], v[70:71] op_sel_hi:[1,0,1]
	global_store_dwordx2 v[52:53], v[24:25], off
	global_store_dwordx2 v[54:55], v[42:43], off
	;; [unrolled: 1-line block ×3, first 2 shown]
	v_mad_u64_u32 v[24:25], s[6:7], s16, v1, 0
	v_mov_b32_e32 v22, v25
	v_mad_u64_u32 v[30:31], s[6:7], s17, v1, v[22:23]
	v_mov_b32_e32 v25, v30
	v_add_u32_e32 v9, 0x113, v1
	v_lshl_add_u64 v[40:41], v[24:25], 3, v[2:3]
	v_mad_u64_u32 v[24:25], s[6:7], s16, v9, 0
	v_mov_b32_e32 v22, v25
	v_mad_u64_u32 v[30:31], s[6:7], s17, v9, v[22:23]
	v_mov_b32_e32 v25, v30
	v_add_u32_e32 v9, 0x226, v1
	v_lshl_add_u64 v[42:43], v[24:25], 3, v[2:3]
	;; [unrolled: 6-line block ×4, first 2 shown]
	v_mad_u64_u32 v[24:25], s[6:7], s16, v1, 0
	v_mov_b32_e32 v22, v25
	v_mad_u64_u32 v[30:31], s[6:7], s17, v1, v[22:23]
	v_mov_b32_e32 v25, v30
	v_lshl_add_u64 v[52:53], v[24:25], 3, v[2:3]
	v_add_u32_e32 v1, 0xdc, v122
	s_waitcnt vmcnt(5)
	v_pk_mul_f32 v[24:25], v[16:17], v[46:47] op_sel_hi:[0,1]
	v_pk_fma_f32 v[54:55], v[10:11], v[46:47], v[24:25] op_sel:[0,0,1] op_sel_hi:[1,1,0]
	v_pk_fma_f32 v[24:25], v[10:11], v[46:47], v[24:25] op_sel:[0,0,1] op_sel_hi:[0,1,0] neg_lo:[1,0,0] neg_hi:[1,0,0]
	v_mov_b32_e32 v10, v35
	v_mov_b32_e32 v55, v25
	v_pk_mul_f32 v[24:25], v[10:11], v[36:37] op_sel_hi:[0,1]
	v_mov_b32_e32 v10, v27
	v_pk_fma_f32 v[34:35], v[10:11], v[36:37], v[24:25] op_sel:[0,0,1] op_sel_hi:[1,1,0]
	v_pk_fma_f32 v[24:25], v[10:11], v[36:37], v[24:25] op_sel:[0,0,1] op_sel_hi:[0,1,0] neg_lo:[1,0,0] neg_hi:[1,0,0]
	v_mov_b32_e32 v10, v33
	v_mov_b32_e32 v35, v25
	v_pk_mul_f32 v[24:25], v[10:11], v[44:45] op_sel_hi:[0,1]
	v_mov_b32_e32 v10, v23
	v_pk_fma_f32 v[26:27], v[10:11], v[44:45], v[24:25] op_sel:[0,0,1] op_sel_hi:[1,1,0]
	v_pk_fma_f32 v[22:23], v[10:11], v[44:45], v[24:25] op_sel:[0,0,1] op_sel_hi:[0,1,0] neg_lo:[1,0,0] neg_hi:[1,0,0]
	v_mov_b32_e32 v27, v23
	v_pk_mul_f32 v[22:23], v[18:19], v[38:39] op_sel_hi:[0,1]
	v_pk_fma_f32 v[36:37], v[12:13], v[38:39], v[22:23] op_sel:[0,0,1] op_sel_hi:[1,1,0]
	v_pk_fma_f32 v[22:23], v[12:13], v[38:39], v[22:23] op_sel:[0,0,1] op_sel_hi:[0,1,0] neg_lo:[1,0,0] neg_hi:[1,0,0]
	v_mov_b32_e32 v37, v23
	v_pk_add_f32 v[22:23], v[54:55], v[34:35]
	v_mov_b32_e32 v38, v6
	v_mov_b32_e32 v39, v4
	v_pk_fma_f32 v[44:45], v[22:23], 0.5, v[38:39] op_sel_hi:[1,0,1] neg_lo:[1,0,0] neg_hi:[1,0,0]
	v_pk_add_f32 v[22:23], v[26:27], v[54:55] neg_lo:[0,1] neg_hi:[0,1]
	v_pk_add_f32 v[24:25], v[36:37], v[34:35] neg_lo:[0,1] neg_hi:[0,1]
	;; [unrolled: 1-line block ×3, first 2 shown]
	v_pk_add_f32 v[58:59], v[22:23], v[24:25]
	global_load_dwordx4 v[22:25], v[28:29], off offset:2128
	global_load_dwordx4 v[30:33], v[28:29], off offset:2112
	v_pk_add_f32 v[56:57], v[54:55], v[34:35] neg_lo:[0,1] neg_hi:[0,1]
	v_pk_fma_f32 v[60:61], v[46:47], s[10:11], v[44:45] op_sel:[1,0,0] op_sel_hi:[0,0,1]
	v_pk_fma_f32 v[28:29], v[46:47], s[10:11], v[44:45] op_sel:[1,0,0] op_sel_hi:[0,0,1] neg_lo:[1,0,0] neg_hi:[1,0,0]
	v_pk_add_f32 v[62:63], v[38:39], v[26:27]
	v_pk_fma_f32 v[28:29], v[56:57], s[4:5], v[28:29] op_sel:[1,0,0] op_sel_hi:[0,0,1] neg_lo:[1,0,0] neg_hi:[1,0,0]
	v_pk_fma_f32 v[44:45], v[56:57], s[4:5], v[60:61] op_sel:[1,0,0] op_sel_hi:[0,0,1]
	v_pk_add_f32 v[62:63], v[62:63], v[54:55]
	v_mov_b32_e32 v61, v29
	v_pk_add_f32 v[62:63], v[62:63], v[34:35]
	v_mov_b32_e32 v29, v45
	v_mul_hi_u32 v4, v1, s1
	v_pk_add_f32 v[62:63], v[36:37], v[62:63]
	v_pk_fma_f32 v[28:29], v[58:59], s[0:1], v[28:29] op_sel_hi:[1,0,1]
	v_sub_u32_e32 v6, v1, v4
	global_store_dwordx2 v[40:41], v[62:63], off
	global_store_dwordx2 v[42:43], v[28:29], off
	v_pk_add_f32 v[28:29], v[26:27], v[36:37]
	v_lshrrev_b32_e32 v6, 1, v6
	v_pk_fma_f32 v[28:29], v[28:29], 0.5, v[38:39] op_sel_hi:[1,0,1] neg_lo:[1,0,0] neg_hi:[1,0,0]
	v_pk_add_f32 v[26:27], v[54:55], v[26:27] neg_lo:[0,1] neg_hi:[0,1]
	v_pk_add_f32 v[34:35], v[34:35], v[36:37] neg_lo:[0,1] neg_hi:[0,1]
	v_add_u32_e32 v4, v6, v4
	v_pk_add_f32 v[26:27], v[26:27], v[34:35]
	v_pk_fma_f32 v[34:35], v[56:57], s[10:11], v[28:29] op_sel:[1,0,0] op_sel_hi:[0,0,1] neg_lo:[1,0,0] neg_hi:[1,0,0]
	v_pk_fma_f32 v[28:29], v[56:57], s[10:11], v[28:29] op_sel:[1,0,0] op_sel_hi:[0,0,1]
	v_lshrrev_b32_e32 v4, 8, v4
	v_pk_fma_f32 v[28:29], v[46:47], s[4:5], v[28:29] op_sel:[1,0,0] op_sel_hi:[0,0,1] neg_lo:[1,0,0] neg_hi:[1,0,0]
	v_pk_fma_f32 v[34:35], v[46:47], s[4:5], v[34:35] op_sel:[1,0,0] op_sel_hi:[0,0,1]
	v_mul_u32_u24_e32 v6, 0x113, v4
	v_mov_b32_e32 v36, v34
	v_mov_b32_e32 v37, v29
	;; [unrolled: 1-line block ×3, first 2 shown]
	v_sub_u32_e32 v1, v1, v6
	v_mov_b32_e32 v60, v44
	v_pk_fma_f32 v[36:37], v[26:27], s[0:1], v[36:37] op_sel_hi:[1,0,1]
	v_pk_fma_f32 v[26:27], v[26:27], s[0:1], v[28:29] op_sel_hi:[1,0,1]
	v_mad_u32_u24 v1, v4, s2, v1
	v_pk_fma_f32 v[60:61], v[58:59], s[0:1], v[60:61] op_sel_hi:[1,0,1]
	global_store_dwordx2 v[48:49], v[26:27], off
	global_store_dwordx2 v[50:51], v[36:37], off
	;; [unrolled: 1-line block ×3, first 2 shown]
	v_mad_u64_u32 v[26:27], s[2:3], s16, v1, 0
	v_mov_b32_e32 v4, v27
	v_mad_u64_u32 v[28:29], s[2:3], s17, v1, v[4:5]
	v_add_u32_e32 v6, 0x113, v1
	v_mov_b32_e32 v27, v28
	v_mad_u64_u32 v[28:29], s[2:3], s16, v6, 0
	v_mov_b32_e32 v4, v29
	v_mad_u64_u32 v[34:35], s[2:3], s17, v6, v[4:5]
	v_add_u32_e32 v6, 0x226, v1
	v_mov_b32_e32 v29, v34
	;; [unrolled: 5-line block ×4, first 2 shown]
	v_mad_u64_u32 v[38:39], s[2:3], s16, v1, 0
	v_mov_b32_e32 v4, v39
	v_mad_u64_u32 v[40:41], s[2:3], s17, v1, v[4:5]
	v_mov_b32_e32 v39, v40
	v_lshl_add_u64 v[26:27], v[26:27], 3, v[2:3]
	v_lshl_add_u64 v[28:29], v[28:29], 3, v[2:3]
	;; [unrolled: 1-line block ×5, first 2 shown]
	v_mov_b32_e32 v4, v19
	s_waitcnt vmcnt(5)
	v_pk_mul_f32 v[20:21], v[20:21], v[30:31] op_sel_hi:[0,1]
	v_pk_fma_f32 v[38:39], v[8:9], v[30:31], v[20:21] op_sel:[0,0,1] op_sel_hi:[1,1,0]
	v_pk_fma_f32 v[8:9], v[8:9], v[30:31], v[20:21] op_sel:[0,0,1] op_sel_hi:[0,1,0] neg_lo:[1,0,0] neg_hi:[1,0,0]
	v_mov_b32_e32 v39, v9
	v_pk_mul_f32 v[8:9], v[4:5], v[24:25] op_sel_hi:[0,1]
	v_mov_b32_e32 v4, v13
	v_pk_fma_f32 v[18:19], v[4:5], v[24:25], v[8:9] op_sel:[0,0,1] op_sel_hi:[1,1,0]
	v_pk_fma_f32 v[8:9], v[4:5], v[24:25], v[8:9] op_sel:[0,0,1] op_sel_hi:[0,1,0] neg_lo:[1,0,0] neg_hi:[1,0,0]
	v_mov_b32_e32 v4, v17
	v_mov_b32_e32 v19, v9
	v_pk_mul_f32 v[8:9], v[4:5], v[32:33] op_sel_hi:[0,1]
	v_mov_b32_e32 v4, v11
	v_pk_fma_f32 v[12:13], v[4:5], v[32:33], v[8:9] op_sel:[0,0,1] op_sel_hi:[1,1,0]
	v_pk_fma_f32 v[8:9], v[4:5], v[32:33], v[8:9] op_sel:[0,0,1] op_sel_hi:[0,1,0] neg_lo:[1,0,0] neg_hi:[1,0,0]
	v_mov_b32_e32 v13, v9
	v_pk_mul_f32 v[8:9], v[14:15], v[22:23] op_sel_hi:[0,1]
	v_pk_fma_f32 v[10:11], v[0:1], v[22:23], v[8:9] op_sel:[0,0,1] op_sel_hi:[1,1,0]
	v_pk_fma_f32 v[0:1], v[0:1], v[22:23], v[8:9] op_sel:[0,0,1] op_sel_hi:[0,1,0] neg_lo:[1,0,0] neg_hi:[1,0,0]
	v_mov_b32_e32 v11, v1
	v_pk_add_f32 v[0:1], v[38:39], v[12:13] neg_lo:[0,1] neg_hi:[0,1]
	v_pk_add_f32 v[8:9], v[18:19], v[10:11] neg_lo:[0,1] neg_hi:[0,1]
	v_mov_b32_e32 v4, v7
	v_pk_add_f32 v[0:1], v[0:1], v[8:9]
	v_pk_add_f32 v[8:9], v[12:13], v[10:11]
	v_pk_add_f32 v[16:17], v[12:13], v[10:11] neg_lo:[0,1] neg_hi:[0,1]
	v_pk_fma_f32 v[6:7], v[8:9], 0.5, v[4:5] op_sel_hi:[1,0,1] neg_lo:[1,0,0] neg_hi:[1,0,0]
	v_pk_add_f32 v[8:9], v[38:39], v[18:19] neg_lo:[0,1] neg_hi:[0,1]
	v_pk_add_f32 v[22:23], v[4:5], v[38:39]
	v_pk_fma_f32 v[14:15], v[8:9], s[10:11], v[6:7] op_sel:[1,0,0] op_sel_hi:[0,0,1]
	v_pk_fma_f32 v[6:7], v[8:9], s[10:11], v[6:7] op_sel:[1,0,0] op_sel_hi:[0,0,1] neg_lo:[1,0,0] neg_hi:[1,0,0]
	v_pk_fma_f32 v[6:7], v[16:17], s[4:5], v[6:7] op_sel:[1,0,0] op_sel_hi:[0,0,1] neg_lo:[1,0,0] neg_hi:[1,0,0]
	v_pk_fma_f32 v[14:15], v[16:17], s[4:5], v[14:15] op_sel:[1,0,0] op_sel_hi:[0,0,1]
	v_pk_add_f32 v[22:23], v[22:23], v[12:13]
	v_mov_b32_e32 v20, v14
	v_mov_b32_e32 v21, v7
	v_pk_add_f32 v[22:23], v[22:23], v[10:11]
	v_mov_b32_e32 v7, v15
	v_pk_fma_f32 v[20:21], v[0:1], s[0:1], v[20:21] op_sel_hi:[1,0,1]
	v_pk_add_f32 v[22:23], v[18:19], v[22:23]
	v_pk_fma_f32 v[0:1], v[0:1], s[0:1], v[6:7] op_sel_hi:[1,0,1]
	global_store_dwordx2 v[26:27], v[22:23], off
	global_store_dwordx2 v[28:29], v[0:1], off
	v_pk_add_f32 v[0:1], v[12:13], v[38:39] neg_lo:[0,1] neg_hi:[0,1]
	v_pk_add_f32 v[6:7], v[10:11], v[18:19] neg_lo:[0,1] neg_hi:[0,1]
	s_nop 0
	v_pk_add_f32 v[0:1], v[0:1], v[6:7]
	v_pk_add_f32 v[6:7], v[38:39], v[18:19]
	s_nop 0
	v_pk_fma_f32 v[4:5], v[6:7], 0.5, v[4:5] op_sel_hi:[1,0,1] neg_lo:[1,0,0] neg_hi:[1,0,0]
	s_nop 0
	v_pk_fma_f32 v[6:7], v[16:17], s[10:11], v[4:5] op_sel:[1,0,0] op_sel_hi:[0,0,1] neg_lo:[1,0,0] neg_hi:[1,0,0]
	v_pk_fma_f32 v[4:5], v[16:17], s[10:11], v[4:5] op_sel:[1,0,0] op_sel_hi:[0,0,1]
	v_pk_fma_f32 v[4:5], v[8:9], s[4:5], v[4:5] op_sel:[1,0,0] op_sel_hi:[0,0,1] neg_lo:[1,0,0] neg_hi:[1,0,0]
	v_pk_fma_f32 v[6:7], v[8:9], s[4:5], v[6:7] op_sel:[1,0,0] op_sel_hi:[0,0,1]
	v_mov_b32_e32 v8, v6
	v_mov_b32_e32 v9, v5
	;; [unrolled: 1-line block ×3, first 2 shown]
	v_pk_fma_f32 v[8:9], v[0:1], s[0:1], v[8:9] op_sel_hi:[1,0,1]
	v_pk_fma_f32 v[0:1], v[0:1], s[0:1], v[4:5] op_sel_hi:[1,0,1]
	global_store_dwordx2 v[34:35], v[0:1], off
	global_store_dwordx2 v[36:37], v[8:9], off
	;; [unrolled: 1-line block ×3, first 2 shown]
.LBB0_21:
	s_endpgm
	.section	.rodata,"a",@progbits
	.p2align	6, 0x0
	.amdhsa_kernel fft_rtc_back_len1375_factors_11_5_5_5_wgs_55_tpt_55_halfLds_sp_op_CI_CI_sbrr_dirReg
		.amdhsa_group_segment_fixed_size 0
		.amdhsa_private_segment_fixed_size 0
		.amdhsa_kernarg_size 104
		.amdhsa_user_sgpr_count 2
		.amdhsa_user_sgpr_dispatch_ptr 0
		.amdhsa_user_sgpr_queue_ptr 0
		.amdhsa_user_sgpr_kernarg_segment_ptr 1
		.amdhsa_user_sgpr_dispatch_id 0
		.amdhsa_user_sgpr_kernarg_preload_length 0
		.amdhsa_user_sgpr_kernarg_preload_offset 0
		.amdhsa_user_sgpr_private_segment_size 0
		.amdhsa_uses_dynamic_stack 0
		.amdhsa_enable_private_segment 0
		.amdhsa_system_sgpr_workgroup_id_x 1
		.amdhsa_system_sgpr_workgroup_id_y 0
		.amdhsa_system_sgpr_workgroup_id_z 0
		.amdhsa_system_sgpr_workgroup_info 0
		.amdhsa_system_vgpr_workitem_id 0
		.amdhsa_next_free_vgpr 158
		.amdhsa_next_free_sgpr 52
		.amdhsa_accum_offset 160
		.amdhsa_reserve_vcc 1
		.amdhsa_float_round_mode_32 0
		.amdhsa_float_round_mode_16_64 0
		.amdhsa_float_denorm_mode_32 3
		.amdhsa_float_denorm_mode_16_64 3
		.amdhsa_dx10_clamp 1
		.amdhsa_ieee_mode 1
		.amdhsa_fp16_overflow 0
		.amdhsa_tg_split 0
		.amdhsa_exception_fp_ieee_invalid_op 0
		.amdhsa_exception_fp_denorm_src 0
		.amdhsa_exception_fp_ieee_div_zero 0
		.amdhsa_exception_fp_ieee_overflow 0
		.amdhsa_exception_fp_ieee_underflow 0
		.amdhsa_exception_fp_ieee_inexact 0
		.amdhsa_exception_int_div_zero 0
	.end_amdhsa_kernel
	.text
.Lfunc_end0:
	.size	fft_rtc_back_len1375_factors_11_5_5_5_wgs_55_tpt_55_halfLds_sp_op_CI_CI_sbrr_dirReg, .Lfunc_end0-fft_rtc_back_len1375_factors_11_5_5_5_wgs_55_tpt_55_halfLds_sp_op_CI_CI_sbrr_dirReg
                                        ; -- End function
	.section	.AMDGPU.csdata,"",@progbits
; Kernel info:
; codeLenInByte = 18092
; NumSgprs: 58
; NumVgprs: 158
; NumAgprs: 0
; TotalNumVgprs: 158
; ScratchSize: 0
; MemoryBound: 0
; FloatMode: 240
; IeeeMode: 1
; LDSByteSize: 0 bytes/workgroup (compile time only)
; SGPRBlocks: 7
; VGPRBlocks: 19
; NumSGPRsForWavesPerEU: 58
; NumVGPRsForWavesPerEU: 158
; AccumOffset: 160
; Occupancy: 3
; WaveLimiterHint : 1
; COMPUTE_PGM_RSRC2:SCRATCH_EN: 0
; COMPUTE_PGM_RSRC2:USER_SGPR: 2
; COMPUTE_PGM_RSRC2:TRAP_HANDLER: 0
; COMPUTE_PGM_RSRC2:TGID_X_EN: 1
; COMPUTE_PGM_RSRC2:TGID_Y_EN: 0
; COMPUTE_PGM_RSRC2:TGID_Z_EN: 0
; COMPUTE_PGM_RSRC2:TIDIG_COMP_CNT: 0
; COMPUTE_PGM_RSRC3_GFX90A:ACCUM_OFFSET: 39
; COMPUTE_PGM_RSRC3_GFX90A:TG_SPLIT: 0
	.text
	.p2alignl 6, 3212836864
	.fill 256, 4, 3212836864
	.type	__hip_cuid_95bfe538d418ef2c,@object ; @__hip_cuid_95bfe538d418ef2c
	.section	.bss,"aw",@nobits
	.globl	__hip_cuid_95bfe538d418ef2c
__hip_cuid_95bfe538d418ef2c:
	.byte	0                               ; 0x0
	.size	__hip_cuid_95bfe538d418ef2c, 1

	.ident	"AMD clang version 19.0.0git (https://github.com/RadeonOpenCompute/llvm-project roc-6.4.0 25133 c7fe45cf4b819c5991fe208aaa96edf142730f1d)"
	.section	".note.GNU-stack","",@progbits
	.addrsig
	.addrsig_sym __hip_cuid_95bfe538d418ef2c
	.amdgpu_metadata
---
amdhsa.kernels:
  - .agpr_count:     0
    .args:
      - .actual_access:  read_only
        .address_space:  global
        .offset:         0
        .size:           8
        .value_kind:     global_buffer
      - .offset:         8
        .size:           8
        .value_kind:     by_value
      - .actual_access:  read_only
        .address_space:  global
        .offset:         16
        .size:           8
        .value_kind:     global_buffer
      - .actual_access:  read_only
        .address_space:  global
        .offset:         24
        .size:           8
        .value_kind:     global_buffer
      - .actual_access:  read_only
        .address_space:  global
        .offset:         32
        .size:           8
        .value_kind:     global_buffer
      - .offset:         40
        .size:           8
        .value_kind:     by_value
      - .actual_access:  read_only
        .address_space:  global
        .offset:         48
        .size:           8
        .value_kind:     global_buffer
      - .actual_access:  read_only
        .address_space:  global
        .offset:         56
        .size:           8
        .value_kind:     global_buffer
      - .offset:         64
        .size:           4
        .value_kind:     by_value
      - .actual_access:  read_only
        .address_space:  global
        .offset:         72
        .size:           8
        .value_kind:     global_buffer
      - .actual_access:  read_only
        .address_space:  global
        .offset:         80
        .size:           8
        .value_kind:     global_buffer
      - .actual_access:  read_only
        .address_space:  global
        .offset:         88
        .size:           8
        .value_kind:     global_buffer
      - .actual_access:  write_only
        .address_space:  global
        .offset:         96
        .size:           8
        .value_kind:     global_buffer
    .group_segment_fixed_size: 0
    .kernarg_segment_align: 8
    .kernarg_segment_size: 104
    .language:       OpenCL C
    .language_version:
      - 2
      - 0
    .max_flat_workgroup_size: 55
    .name:           fft_rtc_back_len1375_factors_11_5_5_5_wgs_55_tpt_55_halfLds_sp_op_CI_CI_sbrr_dirReg
    .private_segment_fixed_size: 0
    .sgpr_count:     58
    .sgpr_spill_count: 0
    .symbol:         fft_rtc_back_len1375_factors_11_5_5_5_wgs_55_tpt_55_halfLds_sp_op_CI_CI_sbrr_dirReg.kd
    .uniform_work_group_size: 1
    .uses_dynamic_stack: false
    .vgpr_count:     158
    .vgpr_spill_count: 0
    .wavefront_size: 64
amdhsa.target:   amdgcn-amd-amdhsa--gfx950
amdhsa.version:
  - 1
  - 2
...

	.end_amdgpu_metadata
